;; amdgpu-corpus repo=ROCm/rocFFT kind=compiled arch=gfx1030 opt=O3
	.text
	.amdgcn_target "amdgcn-amd-amdhsa--gfx1030"
	.amdhsa_code_object_version 6
	.protected	fft_rtc_back_len1352_factors_2_13_13_4_wgs_52_tpt_52_halfLds_sp_op_CI_CI_sbrr_dirReg ; -- Begin function fft_rtc_back_len1352_factors_2_13_13_4_wgs_52_tpt_52_halfLds_sp_op_CI_CI_sbrr_dirReg
	.globl	fft_rtc_back_len1352_factors_2_13_13_4_wgs_52_tpt_52_halfLds_sp_op_CI_CI_sbrr_dirReg
	.p2align	8
	.type	fft_rtc_back_len1352_factors_2_13_13_4_wgs_52_tpt_52_halfLds_sp_op_CI_CI_sbrr_dirReg,@function
fft_rtc_back_len1352_factors_2_13_13_4_wgs_52_tpt_52_halfLds_sp_op_CI_CI_sbrr_dirReg: ; @fft_rtc_back_len1352_factors_2_13_13_4_wgs_52_tpt_52_halfLds_sp_op_CI_CI_sbrr_dirReg
; %bb.0:
	s_clause 0x2
	s_load_dwordx4 s[16:19], s[4:5], 0x18
	s_load_dwordx4 s[8:11], s[4:5], 0x0
	;; [unrolled: 1-line block ×3, first 2 shown]
	v_mul_u32_u24_e32 v1, 0x4ed, v0
	v_mov_b32_e32 v3, 0
	s_waitcnt lgkmcnt(0)
	s_load_dwordx2 s[20:21], s[16:17], 0x0
	s_load_dwordx2 s[2:3], s[18:19], 0x0
	v_cmp_lt_u64_e64 s0, s[10:11], 2
	v_add_nc_u32_sdwa v5, s6, v1 dst_sel:DWORD dst_unused:UNUSED_PAD src0_sel:DWORD src1_sel:WORD_1
	v_mov_b32_e32 v1, 0
	v_mov_b32_e32 v6, v3
	;; [unrolled: 1-line block ×3, first 2 shown]
	s_and_b32 vcc_lo, exec_lo, s0
	s_cbranch_vccnz .LBB0_8
; %bb.1:
	s_load_dwordx2 s[0:1], s[4:5], 0x10
	v_mov_b32_e32 v1, 0
	v_mov_b32_e32 v2, 0
	s_add_u32 s6, s18, 8
	s_addc_u32 s7, s19, 0
	s_add_u32 s22, s16, 8
	s_addc_u32 s23, s17, 0
	v_mov_b32_e32 v25, v2
	v_mov_b32_e32 v24, v1
	s_mov_b64 s[26:27], 1
	s_waitcnt lgkmcnt(0)
	s_add_u32 s24, s0, 8
	s_addc_u32 s25, s1, 0
.LBB0_2:                                ; =>This Inner Loop Header: Depth=1
	s_load_dwordx2 s[28:29], s[24:25], 0x0
                                        ; implicit-def: $vgpr26_vgpr27
	s_mov_b32 s0, exec_lo
	s_waitcnt lgkmcnt(0)
	v_or_b32_e32 v4, s29, v6
	v_cmpx_ne_u64_e32 0, v[3:4]
	s_xor_b32 s1, exec_lo, s0
	s_cbranch_execz .LBB0_4
; %bb.3:                                ;   in Loop: Header=BB0_2 Depth=1
	v_cvt_f32_u32_e32 v4, s28
	v_cvt_f32_u32_e32 v7, s29
	s_sub_u32 s0, 0, s28
	s_subb_u32 s30, 0, s29
	v_fmac_f32_e32 v4, 0x4f800000, v7
	v_rcp_f32_e32 v4, v4
	v_mul_f32_e32 v4, 0x5f7ffffc, v4
	v_mul_f32_e32 v7, 0x2f800000, v4
	v_trunc_f32_e32 v7, v7
	v_fmac_f32_e32 v4, 0xcf800000, v7
	v_cvt_u32_f32_e32 v7, v7
	v_cvt_u32_f32_e32 v4, v4
	v_mul_lo_u32 v8, s0, v7
	v_mul_hi_u32 v9, s0, v4
	v_mul_lo_u32 v10, s30, v4
	v_add_nc_u32_e32 v8, v9, v8
	v_mul_lo_u32 v9, s0, v4
	v_add_nc_u32_e32 v8, v8, v10
	v_mul_hi_u32 v10, v4, v9
	v_mul_lo_u32 v11, v4, v8
	v_mul_hi_u32 v12, v4, v8
	v_mul_hi_u32 v13, v7, v9
	v_mul_lo_u32 v9, v7, v9
	v_mul_hi_u32 v14, v7, v8
	v_mul_lo_u32 v8, v7, v8
	v_add_co_u32 v10, vcc_lo, v10, v11
	v_add_co_ci_u32_e32 v11, vcc_lo, 0, v12, vcc_lo
	v_add_co_u32 v9, vcc_lo, v10, v9
	v_add_co_ci_u32_e32 v9, vcc_lo, v11, v13, vcc_lo
	v_add_co_ci_u32_e32 v10, vcc_lo, 0, v14, vcc_lo
	v_add_co_u32 v8, vcc_lo, v9, v8
	v_add_co_ci_u32_e32 v9, vcc_lo, 0, v10, vcc_lo
	v_add_co_u32 v4, vcc_lo, v4, v8
	v_add_co_ci_u32_e32 v7, vcc_lo, v7, v9, vcc_lo
	v_mul_hi_u32 v8, s0, v4
	v_mul_lo_u32 v10, s30, v4
	v_mul_lo_u32 v9, s0, v7
	v_add_nc_u32_e32 v8, v8, v9
	v_mul_lo_u32 v9, s0, v4
	v_add_nc_u32_e32 v8, v8, v10
	v_mul_hi_u32 v10, v4, v9
	v_mul_lo_u32 v11, v4, v8
	v_mul_hi_u32 v12, v4, v8
	v_mul_hi_u32 v13, v7, v9
	v_mul_lo_u32 v9, v7, v9
	v_mul_hi_u32 v14, v7, v8
	v_mul_lo_u32 v8, v7, v8
	v_add_co_u32 v10, vcc_lo, v10, v11
	v_add_co_ci_u32_e32 v11, vcc_lo, 0, v12, vcc_lo
	v_add_co_u32 v9, vcc_lo, v10, v9
	v_add_co_ci_u32_e32 v9, vcc_lo, v11, v13, vcc_lo
	v_add_co_ci_u32_e32 v10, vcc_lo, 0, v14, vcc_lo
	v_add_co_u32 v8, vcc_lo, v9, v8
	v_add_co_ci_u32_e32 v9, vcc_lo, 0, v10, vcc_lo
	v_add_co_u32 v4, vcc_lo, v4, v8
	v_add_co_ci_u32_e32 v11, vcc_lo, v7, v9, vcc_lo
	v_mul_hi_u32 v13, v5, v4
	v_mad_u64_u32 v[9:10], null, v6, v4, 0
	v_mad_u64_u32 v[7:8], null, v5, v11, 0
	v_mad_u64_u32 v[11:12], null, v6, v11, 0
	v_add_co_u32 v4, vcc_lo, v13, v7
	v_add_co_ci_u32_e32 v7, vcc_lo, 0, v8, vcc_lo
	v_add_co_u32 v4, vcc_lo, v4, v9
	v_add_co_ci_u32_e32 v4, vcc_lo, v7, v10, vcc_lo
	v_add_co_ci_u32_e32 v7, vcc_lo, 0, v12, vcc_lo
	v_add_co_u32 v4, vcc_lo, v4, v11
	v_add_co_ci_u32_e32 v9, vcc_lo, 0, v7, vcc_lo
	v_mul_lo_u32 v10, s29, v4
	v_mad_u64_u32 v[7:8], null, s28, v4, 0
	v_mul_lo_u32 v11, s28, v9
	v_sub_co_u32 v7, vcc_lo, v5, v7
	v_add3_u32 v8, v8, v11, v10
	v_sub_nc_u32_e32 v10, v6, v8
	v_subrev_co_ci_u32_e64 v10, s0, s29, v10, vcc_lo
	v_add_co_u32 v11, s0, v4, 2
	v_add_co_ci_u32_e64 v12, s0, 0, v9, s0
	v_sub_co_u32 v13, s0, v7, s28
	v_sub_co_ci_u32_e32 v8, vcc_lo, v6, v8, vcc_lo
	v_subrev_co_ci_u32_e64 v10, s0, 0, v10, s0
	v_cmp_le_u32_e32 vcc_lo, s28, v13
	v_cmp_eq_u32_e64 s0, s29, v8
	v_cndmask_b32_e64 v13, 0, -1, vcc_lo
	v_cmp_le_u32_e32 vcc_lo, s29, v10
	v_cndmask_b32_e64 v14, 0, -1, vcc_lo
	v_cmp_le_u32_e32 vcc_lo, s28, v7
	;; [unrolled: 2-line block ×3, first 2 shown]
	v_cndmask_b32_e64 v15, 0, -1, vcc_lo
	v_cmp_eq_u32_e32 vcc_lo, s29, v10
	v_cndmask_b32_e64 v7, v15, v7, s0
	v_cndmask_b32_e32 v10, v14, v13, vcc_lo
	v_add_co_u32 v13, vcc_lo, v4, 1
	v_add_co_ci_u32_e32 v14, vcc_lo, 0, v9, vcc_lo
	v_cmp_ne_u32_e32 vcc_lo, 0, v10
	v_cndmask_b32_e32 v8, v14, v12, vcc_lo
	v_cndmask_b32_e32 v10, v13, v11, vcc_lo
	v_cmp_ne_u32_e32 vcc_lo, 0, v7
	v_cndmask_b32_e32 v27, v9, v8, vcc_lo
	v_cndmask_b32_e32 v26, v4, v10, vcc_lo
.LBB0_4:                                ;   in Loop: Header=BB0_2 Depth=1
	s_andn2_saveexec_b32 s0, s1
	s_cbranch_execz .LBB0_6
; %bb.5:                                ;   in Loop: Header=BB0_2 Depth=1
	v_cvt_f32_u32_e32 v4, s28
	s_sub_i32 s1, 0, s28
	v_mov_b32_e32 v27, v3
	v_rcp_iflag_f32_e32 v4, v4
	v_mul_f32_e32 v4, 0x4f7ffffe, v4
	v_cvt_u32_f32_e32 v4, v4
	v_mul_lo_u32 v7, s1, v4
	v_mul_hi_u32 v7, v4, v7
	v_add_nc_u32_e32 v4, v4, v7
	v_mul_hi_u32 v4, v5, v4
	v_mul_lo_u32 v7, v4, s28
	v_add_nc_u32_e32 v8, 1, v4
	v_sub_nc_u32_e32 v7, v5, v7
	v_subrev_nc_u32_e32 v9, s28, v7
	v_cmp_le_u32_e32 vcc_lo, s28, v7
	v_cndmask_b32_e32 v7, v7, v9, vcc_lo
	v_cndmask_b32_e32 v4, v4, v8, vcc_lo
	v_cmp_le_u32_e32 vcc_lo, s28, v7
	v_add_nc_u32_e32 v8, 1, v4
	v_cndmask_b32_e32 v26, v4, v8, vcc_lo
.LBB0_6:                                ;   in Loop: Header=BB0_2 Depth=1
	s_or_b32 exec_lo, exec_lo, s0
	v_mul_lo_u32 v4, v27, s28
	v_mul_lo_u32 v9, v26, s29
	s_load_dwordx2 s[0:1], s[22:23], 0x0
	v_mad_u64_u32 v[7:8], null, v26, s28, 0
	s_load_dwordx2 s[28:29], s[6:7], 0x0
	s_add_u32 s26, s26, 1
	s_addc_u32 s27, s27, 0
	s_add_u32 s6, s6, 8
	s_addc_u32 s7, s7, 0
	s_add_u32 s22, s22, 8
	v_add3_u32 v4, v8, v9, v4
	v_sub_co_u32 v5, vcc_lo, v5, v7
	s_addc_u32 s23, s23, 0
	s_add_u32 s24, s24, 8
	v_sub_co_ci_u32_e32 v4, vcc_lo, v6, v4, vcc_lo
	s_addc_u32 s25, s25, 0
	s_waitcnt lgkmcnt(0)
	v_mul_lo_u32 v6, s0, v4
	v_mul_lo_u32 v7, s1, v5
	v_mad_u64_u32 v[1:2], null, s0, v5, v[1:2]
	v_mul_lo_u32 v4, s28, v4
	v_mul_lo_u32 v8, s29, v5
	v_mad_u64_u32 v[24:25], null, s28, v5, v[24:25]
	v_cmp_ge_u64_e64 s0, s[26:27], s[10:11]
	v_add3_u32 v2, v7, v2, v6
	v_add3_u32 v25, v8, v25, v4
	s_and_b32 vcc_lo, exec_lo, s0
	s_cbranch_vccnz .LBB0_9
; %bb.7:                                ;   in Loop: Header=BB0_2 Depth=1
	v_mov_b32_e32 v5, v26
	v_mov_b32_e32 v6, v27
	s_branch .LBB0_2
.LBB0_8:
	v_mov_b32_e32 v25, v2
	v_mov_b32_e32 v27, v6
	;; [unrolled: 1-line block ×4, first 2 shown]
.LBB0_9:
	s_load_dwordx2 s[0:1], s[4:5], 0x28
	v_mul_hi_u32 v32, 0x4ec4ec5, v0
	s_lshl_b64 s[6:7], s[10:11], 3
                                        ; implicit-def: $sgpr10_sgpr11
                                        ; implicit-def: $vgpr67
                                        ; implicit-def: $vgpr68
                                        ; implicit-def: $vgpr69
                                        ; implicit-def: $vgpr70
                                        ; implicit-def: $vgpr71
                                        ; implicit-def: $vgpr72
                                        ; implicit-def: $vgpr73
                                        ; implicit-def: $vgpr23
                                        ; implicit-def: $vgpr36
                                        ; implicit-def: $vgpr39
	s_add_u32 s4, s18, s6
	s_addc_u32 s5, s19, s7
	s_waitcnt lgkmcnt(0)
	v_cmp_gt_u64_e32 vcc_lo, s[0:1], v[26:27]
	v_cmp_le_u64_e64 s0, s[0:1], v[26:27]
	s_and_saveexec_b32 s1, s0
	s_xor_b32 s0, exec_lo, s1
	s_cbranch_execz .LBB0_11
; %bb.10:
	v_mul_u32_u24_e32 v1, 52, v32
	s_mov_b64 s[10:11], 0
                                        ; implicit-def: $vgpr32
	v_sub_nc_u32_e32 v67, v0, v1
                                        ; implicit-def: $vgpr0
                                        ; implicit-def: $vgpr1_vgpr2
	v_add_nc_u32_e32 v68, 52, v67
	v_add_nc_u32_e32 v69, 0x68, v67
	;; [unrolled: 1-line block ×9, first 2 shown]
.LBB0_11:
	s_or_saveexec_b32 s1, s0
	v_mov_b32_e32 v29, s11
	v_mov_b32_e32 v31, s11
	;; [unrolled: 1-line block ×26, first 2 shown]
                                        ; implicit-def: $vgpr35
                                        ; implicit-def: $vgpr33
                                        ; implicit-def: $vgpr38
                                        ; implicit-def: $vgpr50
                                        ; implicit-def: $vgpr54
                                        ; implicit-def: $vgpr58
                                        ; implicit-def: $vgpr48
                                        ; implicit-def: $vgpr52
                                        ; implicit-def: $vgpr56
                                        ; implicit-def: $vgpr62
                                        ; implicit-def: $vgpr60
                                        ; implicit-def: $vgpr64
                                        ; implicit-def: $vgpr66
	s_xor_b32 exec_lo, exec_lo, s1
	s_cbranch_execz .LBB0_13
; %bb.12:
	s_add_u32 s6, s16, s6
	s_addc_u32 s7, s17, s7
	v_mul_u32_u24_e32 v3, 52, v32
	s_load_dwordx2 s[6:7], s[6:7], 0x0
	v_sub_nc_u32_e32 v67, v0, v3
	v_lshlrev_b64 v[0:1], 3, v[1:2]
	v_mad_u64_u32 v[3:4], null, s20, v67, 0
	v_add_nc_u32_e32 v14, 0x2a4, v67
	v_add_nc_u32_e32 v68, 52, v67
	;; [unrolled: 1-line block ×5, first 2 shown]
	v_mad_u64_u32 v[5:6], null, s20, v14, 0
	v_mov_b32_e32 v2, v4
	v_mad_u64_u32 v[7:8], null, s20, v68, 0
	s_waitcnt lgkmcnt(0)
	v_mul_lo_u32 v4, s7, v26
	v_mul_lo_u32 v15, s6, v27
	v_mad_u64_u32 v[9:10], null, s6, v26, 0
	v_mad_u64_u32 v[11:12], null, s21, v67, v[2:3]
	v_mov_b32_e32 v2, v6
	v_mov_b32_e32 v6, v8
	v_mad_u64_u32 v[12:13], null, s20, v17, 0
	v_add3_u32 v10, v10, v15, v4
	v_mad_u64_u32 v[14:15], null, s21, v14, v[2:3]
	v_mov_b32_e32 v4, v11
	v_mad_u64_u32 v[15:16], null, s20, v69, 0
	v_lshlrev_b64 v[8:9], 3, v[9:10]
	v_mad_u64_u32 v[10:11], null, s21, v68, v[6:7]
	v_lshlrev_b64 v[3:4], 3, v[3:4]
	v_mov_b32_e32 v2, v13
	v_mov_b32_e32 v6, v14
	v_add_co_u32 v11, s0, s12, v8
	v_add_co_ci_u32_e64 v9, s0, s13, v9, s0
	v_mov_b32_e32 v8, v10
	v_add_co_u32 v46, s0, v11, v0
	v_add_co_ci_u32_e64 v49, s0, v9, v1, s0
	v_lshlrev_b64 v[0:1], 3, v[5:6]
	v_add_co_u32 v3, s0, v46, v3
	v_add_co_ci_u32_e64 v4, s0, v49, v4, s0
	v_add_nc_u32_e32 v71, 0xd0, v67
	v_mad_u64_u32 v[5:6], null, s21, v17, v[2:3]
	v_add_nc_u32_e32 v17, 0x30c, v67
	v_lshlrev_b64 v[6:7], 3, v[7:8]
	v_mov_b32_e32 v2, v16
	v_add_co_u32 v0, s0, v46, v0
	v_mad_u64_u32 v[8:9], null, s20, v17, 0
	v_mov_b32_e32 v13, v5
	v_mad_u64_u32 v[10:11], null, s21, v69, v[2:3]
	v_add_co_ci_u32_e64 v1, s0, v49, v1, s0
	v_lshlrev_b64 v[11:12], 3, v[12:13]
	v_mov_b32_e32 v2, v9
	v_mad_u64_u32 v[13:14], null, s20, v70, 0
	v_add_co_u32 v5, s0, v46, v6
	v_add_co_ci_u32_e64 v6, s0, v49, v7, s0
	v_mov_b32_e32 v16, v10
	v_mad_u64_u32 v[9:10], null, s21, v17, v[2:3]
	v_add_co_u32 v10, s0, v46, v11
	v_add_co_ci_u32_e64 v11, s0, v49, v12, s0
	v_or_b32_e32 v12, 0x340, v67
	v_mov_b32_e32 v2, v14
	v_lshlrev_b64 v[7:8], 3, v[8:9]
	v_add_nc_u32_e32 v9, 0x374, v67
	v_add_nc_u32_e32 v72, 0x104, v67
	v_mad_u64_u32 v[17:18], null, s20, v12, 0
	v_mad_u64_u32 v[19:20], null, s21, v70, v[2:3]
	v_lshlrev_b64 v[15:16], 3, v[15:16]
	v_add_nc_u32_e32 v73, 0x138, v67
	v_add_nc_u32_e32 v37, 0x1d4, v67
	;; [unrolled: 1-line block ×3, first 2 shown]
	v_mov_b32_e32 v2, v18
	v_mov_b32_e32 v14, v19
	v_mad_u64_u32 v[19:20], null, s20, v71, 0
	v_mad_u64_u32 v[21:22], null, s21, v12, v[2:3]
	v_add_co_u32 v15, s0, v46, v15
	v_lshlrev_b64 v[12:13], 3, v[13:14]
	v_add_co_ci_u32_e64 v16, s0, v49, v16, s0
	v_mov_b32_e32 v2, v20
	v_mov_b32_e32 v18, v21
	v_mad_u64_u32 v[21:22], null, s20, v9, 0
	v_add_co_u32 v7, s0, v46, v7
	v_mad_u64_u32 v[28:29], null, s21, v71, v[2:3]
	v_lshlrev_b64 v[17:18], 3, v[17:18]
	v_add_co_ci_u32_e64 v8, s0, v49, v8, s0
	v_mov_b32_e32 v2, v22
	v_add_co_u32 v12, s0, v46, v12
	v_mov_b32_e32 v20, v28
	v_mad_u64_u32 v[28:29], null, s20, v72, 0
	v_mad_u64_u32 v[22:23], null, s21, v9, v[2:3]
	v_add_nc_u32_e32 v9, 0x3a8, v67
	v_lshlrev_b64 v[19:20], 3, v[19:20]
	v_add_co_ci_u32_e64 v13, s0, v49, v13, s0
	v_mov_b32_e32 v2, v29
	v_mad_u64_u32 v[30:31], null, s20, v9, 0
	v_add_co_u32 v17, s0, v46, v17
	v_mad_u64_u32 v[32:33], null, s21, v72, v[2:3]
	v_lshlrev_b64 v[21:22], 3, v[21:22]
	v_add_co_ci_u32_e64 v18, s0, v49, v18, s0
	v_mov_b32_e32 v2, v31
	v_add_co_u32 v19, s0, v46, v19
	v_mov_b32_e32 v29, v32
	v_mad_u64_u32 v[32:33], null, s20, v73, 0
	v_mad_u64_u32 v[34:35], null, s21, v9, v[2:3]
	v_add_nc_u32_e32 v9, 0x3dc, v67
	v_add_co_ci_u32_e64 v20, s0, v49, v20, s0
	v_add_co_u32 v40, s0, v46, v21
	v_add_co_ci_u32_e64 v41, s0, v49, v22, s0
	v_lshlrev_b64 v[21:22], 3, v[28:29]
	v_mad_u64_u32 v[28:29], null, s20, v9, 0
	v_mov_b32_e32 v2, v33
	v_mov_b32_e32 v31, v34
	v_add_nc_u32_e32 v14, 0x16c, v67
	v_add_co_u32 v42, s0, v46, v21
	v_mad_u64_u32 v[33:34], null, s21, v73, v[2:3]
	v_mov_b32_e32 v2, v29
	v_add_co_ci_u32_e64 v43, s0, v49, v22, s0
	v_lshlrev_b64 v[21:22], 3, v[30:31]
	v_mad_u64_u32 v[30:31], null, s20, v14, 0
	v_mad_u64_u32 v[34:35], null, s21, v9, v[2:3]
	v_add_nc_u32_e32 v9, 0x410, v67
	v_add_co_u32 v47, s0, v46, v21
	v_add_co_ci_u32_e64 v48, s0, v49, v22, s0
	v_lshlrev_b64 v[21:22], 3, v[32:33]
	v_mad_u64_u32 v[32:33], null, s20, v9, 0
	v_mov_b32_e32 v2, v31
	v_mov_b32_e32 v29, v34
	v_add_nc_u32_e32 v23, 0x1a0, v67
	v_add_co_u32 v51, s0, v46, v21
	v_mad_u64_u32 v[34:35], null, s21, v14, v[2:3]
	v_mov_b32_e32 v2, v33
	v_add_co_ci_u32_e64 v52, s0, v49, v22, s0
	v_lshlrev_b64 v[21:22], 3, v[28:29]
	v_add_nc_u32_e32 v14, 0x444, v67
	v_mad_u64_u32 v[28:29], null, s21, v9, v[2:3]
	v_mov_b32_e32 v31, v34
	v_mad_u64_u32 v[34:35], null, s20, v23, 0
	v_add_co_u32 v53, s0, v46, v21
	v_add_co_ci_u32_e64 v54, s0, v49, v22, s0
	v_mov_b32_e32 v33, v28
	v_mad_u64_u32 v[28:29], null, s20, v14, 0
	v_lshlrev_b64 v[21:22], 3, v[30:31]
	v_mad_u64_u32 v[30:31], null, s20, v37, 0
	v_mov_b32_e32 v2, v35
	v_add_co_u32 v55, s0, v46, v21
	v_mad_u64_u32 v[35:36], null, s21, v23, v[2:3]
	v_mov_b32_e32 v2, v29
	v_mov_b32_e32 v9, v31
	v_add_co_ci_u32_e64 v56, s0, v49, v22, s0
	v_lshlrev_b64 v[21:22], 3, v[32:33]
	v_mad_u64_u32 v[31:32], null, s21, v14, v[2:3]
	v_mad_u64_u32 v[32:33], null, s21, v37, v[9:10]
	v_add_nc_u32_e32 v14, 0x478, v67
	v_add_nc_u32_e32 v36, 0x208, v67
	v_add_co_u32 v57, s0, v46, v21
	v_mov_b32_e32 v29, v31
	v_add_co_ci_u32_e64 v58, s0, v49, v22, s0
	v_mov_b32_e32 v31, v32
	v_mad_u64_u32 v[32:33], null, s20, v14, 0
	v_lshlrev_b64 v[21:22], 3, v[34:35]
	v_mad_u64_u32 v[34:35], null, s20, v36, 0
	v_add_co_u32 v59, s0, v46, v21
	v_mov_b32_e32 v2, v33
	v_add_co_ci_u32_e64 v60, s0, v49, v22, s0
	v_lshlrev_b64 v[21:22], 3, v[28:29]
	v_lshlrev_b64 v[28:29], 3, v[30:31]
	v_mov_b32_e32 v9, v35
	v_mad_u64_u32 v[30:31], null, s20, v44, 0
	v_mad_u64_u32 v[37:38], null, s21, v14, v[2:3]
	v_mad_u64_u32 v[38:39], null, s21, v36, v[9:10]
	v_add_nc_u32_e32 v14, 0x23c, v67
	v_add_co_u32 v61, s0, v46, v21
	v_mov_b32_e32 v2, v31
	v_add_co_ci_u32_e64 v62, s0, v49, v22, s0
	v_mov_b32_e32 v33, v37
	v_mov_b32_e32 v35, v38
	v_mad_u64_u32 v[21:22], null, s21, v44, v[2:3]
	v_add_nc_u32_e32 v44, 0x4e0, v67
	v_mad_u64_u32 v[37:38], null, s20, v14, 0
	v_add_co_u32 v74, s0, v46, v28
	v_add_co_ci_u32_e64 v75, s0, v49, v29, s0
	v_lshlrev_b64 v[28:29], 3, v[32:33]
	v_lshlrev_b64 v[32:33], 3, v[34:35]
	v_mad_u64_u32 v[34:35], null, s20, v44, 0
	v_mov_b32_e32 v2, v38
	v_mov_b32_e32 v31, v21
	v_add_co_u32 v76, s0, v46, v28
	v_add_nc_u32_e32 v39, 0x270, v67
	v_add_co_ci_u32_e64 v77, s0, v49, v29, s0
	v_mov_b32_e32 v9, v35
	v_mad_u64_u32 v[28:29], null, s21, v14, v[2:3]
	v_add_nc_u32_e32 v14, 0x514, v67
	v_lshlrev_b64 v[21:22], 3, v[30:31]
	v_mad_u64_u32 v[29:30], null, s21, v44, v[9:10]
	v_mad_u64_u32 v[30:31], null, s20, v39, 0
	;; [unrolled: 1-line block ×3, first 2 shown]
	v_mov_b32_e32 v38, v28
	v_add_co_u32 v78, s0, v46, v32
	v_add_co_ci_u32_e64 v79, s0, v49, v33, s0
	v_mov_b32_e32 v2, v31
	v_mov_b32_e32 v9, v45
	;; [unrolled: 1-line block ×3, first 2 shown]
	v_lshlrev_b64 v[28:29], 3, v[37:38]
	v_add_co_u32 v80, s0, v46, v21
	v_mad_u64_u32 v[31:32], null, s21, v39, v[2:3]
	v_mad_u64_u32 v[32:33], null, s21, v14, v[9:10]
	v_add_co_ci_u32_e64 v81, s0, v49, v22, s0
	v_lshlrev_b64 v[21:22], 3, v[34:35]
	v_add_co_u32 v82, s0, v46, v28
	v_add_co_ci_u32_e64 v83, s0, v49, v29, s0
	v_mov_b32_e32 v45, v32
	v_lshlrev_b64 v[28:29], 3, v[30:31]
	v_add_co_u32 v84, s0, v46, v21
	v_add_co_ci_u32_e64 v85, s0, v49, v22, s0
	v_lshlrev_b64 v[21:22], 3, v[44:45]
	v_add_co_u32 v86, s0, v46, v28
	v_add_co_ci_u32_e64 v87, s0, v49, v29, s0
	v_add_co_u32 v88, s0, v46, v21
	v_add_co_ci_u32_e64 v89, s0, v49, v22, s0
	s_clause 0x19
	global_load_dwordx2 v[28:29], v[3:4], off
	global_load_dwordx2 v[34:35], v[0:1], off
	;; [unrolled: 1-line block ×26, first 2 shown]
.LBB0_13:
	s_or_b32 exec_lo, exec_lo, s1
	s_waitcnt vmcnt(24)
	v_sub_f32_e32 v93, v29, v35
	v_sub_f32_e32 v1, v28, v34
	s_waitcnt vmcnt(22)
	v_sub_f32_e32 v34, v30, v32
	v_sub_f32_e32 v95, v31, v33
	s_waitcnt vmcnt(18)
	v_sub_f32_e32 v32, v21, v65
	s_waitcnt vmcnt(16)
	v_sub_f32_e32 v41, v5, v49
	v_fma_f32 v92, v29, 2.0, -v93
	v_sub_f32_e32 v29, v45, v37
	s_waitcnt vmcnt(14)
	v_sub_f32_e32 v43, v9, v63
	v_fma_f32 v0, v28, 2.0, -v1
	v_fma_f32 v33, v30, 2.0, -v34
	;; [unrolled: 1-line block ×4, first 2 shown]
	v_lshl_add_u32 v21, v67, 3, 0
	v_fma_f32 v40, v5, 2.0, -v41
	v_lshl_add_u32 v5, v68, 3, 0
	v_fma_f32 v28, v45, 2.0, -v29
	s_waitcnt vmcnt(12)
	v_sub_f32_e32 v2, v13, v53
	v_lshl_add_u32 v49, v69, 3, 0
	v_fma_f32 v42, v9, 2.0, -v43
	v_lshl_add_u32 v9, v70, 3, 0
	ds_write_b64 v21, v[0:1]
	ds_write_b64 v5, v[33:34]
	;; [unrolled: 1-line block ×3, first 2 shown]
	s_waitcnt vmcnt(8)
	v_sub_f32_e32 v29, v3, v47
	v_fma_f32 v1, v13, 2.0, -v2
	v_lshl_add_u32 v53, v71, 3, 0
	v_lshl_add_u32 v96, v72, 3, 0
	;; [unrolled: 1-line block ×3, first 2 shown]
	v_sub_f32_e32 v45, v17, v57
	ds_write_b64 v9, v[31:32]
	s_waitcnt vmcnt(6)
	v_sub_f32_e32 v31, v7, v51
	v_fma_f32 v28, v3, 2.0, -v29
	s_waitcnt vmcnt(4)
	v_sub_f32_e32 v3, v11, v55
	ds_write_b64 v53, v[40:41]
	ds_write_b64 v96, v[42:43]
	;; [unrolled: 1-line block ×3, first 2 shown]
	s_waitcnt vmcnt(2)
	v_sub_f32_e32 v1, v15, v59
	s_waitcnt vmcnt(0)
	v_sub_f32_e32 v33, v19, v61
	v_fma_f32 v44, v17, 2.0, -v45
	v_fma_f32 v30, v7, 2.0, -v31
	v_lshl_add_u32 v97, v23, 3, 0
	v_fma_f32 v2, v11, 2.0, -v3
	v_lshl_add_u32 v98, v36, 3, 0
	v_fma_f32 v0, v15, 2.0, -v1
	v_fma_f32 v32, v19, 2.0, -v33
	v_lshl_add_u32 v19, v39, 3, 0
	ds_write_b64 v21, v[44:45] offset:2912
	ds_write_b64 v97, v[28:29]
	s_load_dwordx2 s[4:5], s[4:5], 0x0
	ds_write_b64 v21, v[30:31] offset:3744
	ds_write_b64 v98, v[2:3]
	ds_write_b64 v21, v[0:1] offset:4576
	ds_write_b64 v19, v[32:33]
	v_lshlrev_b32_e32 v1, 2, v36
	v_lshl_add_u32 v47, v67, 2, 0
	v_lshlrev_b32_e32 v75, 2, v73
	v_lshlrev_b32_e32 v0, 2, v23
	;; [unrolled: 1-line block ×3, first 2 shown]
	v_sub_nc_u32_e32 v83, v98, v1
	v_sub_f32_e32 v1, v46, v38
	v_lshlrev_b32_e32 v74, 2, v69
	v_lshlrev_b32_e32 v2, 2, v39
	v_sub_nc_u32_e32 v81, v65, v75
	v_sub_nc_u32_e32 v82, v97, v0
	;; [unrolled: 1-line block ×3, first 2 shown]
	v_add_nc_u32_e32 v79, 0x600, v47
	v_fma_f32 v0, v46, 2.0, -v1
	v_sub_nc_u32_e32 v77, v49, v74
	v_lshl_add_u32 v59, v68, 2, 0
	v_sub_nc_u32_e32 v80, v19, v2
	s_waitcnt lgkmcnt(0)
	s_barrier
	buffer_gl0_inv
	ds_read_b32 v86, v81
	ds_read_b32 v85, v82
	;; [unrolled: 1-line block ×4, first 2 shown]
	v_add_nc_u32_e32 v51, 0x800, v47
	v_add_nc_u32_e32 v55, 0xc00, v47
	v_add_nc_u32_e32 v61, 0xe00, v47
	v_add_nc_u32_e32 v57, 0x1000, v47
	v_add_nc_u32_e32 v63, 0x400, v47
	ds_read_b32 v87, v78
	ds_read_b32 v90, v77
	;; [unrolled: 1-line block ×3, first 2 shown]
	ds_read_b32 v91, v47 offset:5200
	ds_read2_b32 v[28:29], v47 offset1:156
	ds_read2_b32 v[32:33], v51 offset0:164 offset1:216
	ds_read2_b32 v[36:37], v55 offset0:12 offset1:64
	;; [unrolled: 1-line block ×8, first 2 shown]
	s_waitcnt lgkmcnt(0)
	s_barrier
	v_sub_f32_e32 v3, v22, v66
	buffer_gl0_inv
	ds_write_b64 v21, v[92:93]
	ds_write_b64 v5, v[94:95]
	;; [unrolled: 1-line block ×3, first 2 shown]
	v_sub_f32_e32 v1, v6, v50
	v_sub_f32_e32 v7, v10, v64
	;; [unrolled: 1-line block ×4, first 2 shown]
	v_fma_f32 v2, v22, 2.0, -v3
	v_fma_f32 v0, v6, 2.0, -v1
	v_and_b32_e32 v46, 1, v67
	v_fma_f32 v6, v10, 2.0, -v7
	v_fma_f32 v10, v14, 2.0, -v11
	;; [unrolled: 1-line block ×3, first 2 shown]
	ds_write_b64 v9, v[2:3]
	v_sub_f32_e32 v3, v4, v48
	v_sub_f32_e32 v5, v8, v52
	;; [unrolled: 1-line block ×5, first 2 shown]
	ds_write_b64 v53, v[0:1]
	ds_write_b64 v96, v[6:7]
	;; [unrolled: 1-line block ×3, first 2 shown]
	ds_write_b64 v21, v[14:15] offset:2912
	v_mul_u32_u24_e32 v0, 12, v46
	v_fma_f32 v2, v4, 2.0, -v3
	v_fma_f32 v4, v8, 2.0, -v5
	;; [unrolled: 1-line block ×5, first 2 shown]
	v_lshlrev_b32_e32 v18, 3, v0
	ds_write_b64 v97, v[2:3]
	ds_write_b64 v21, v[4:5] offset:3744
	ds_write_b64 v98, v[8:9]
	ds_write_b64 v21, v[12:13] offset:4576
	v_lshrrev_b32_e32 v48, 1, v67
	v_cmp_gt_u32_e64 s0, 26, v67
	ds_write_b64 v19, v[16:17]
	s_waitcnt lgkmcnt(0)
	s_barrier
	buffer_gl0_inv
	s_clause 0x5
	global_load_dwordx4 v[0:3], v18, s[8:9] offset:64
	global_load_dwordx4 v[4:7], v18, s[8:9] offset:80
	;; [unrolled: 1-line block ×5, first 2 shown]
	global_load_dwordx4 v[16:19], v18, s[8:9]
	ds_read2_b32 v[98:99], v55 offset0:116 offset1:168
	ds_read2_b32 v[100:101], v61 offset0:92 offset1:144
	;; [unrolled: 1-line block ×4, first 2 shown]
	ds_read_b32 v97, v47 offset:5200
	ds_read2_b32 v[106:107], v55 offset0:12 offset1:64
	ds_read2_b32 v[108:109], v51 offset0:164 offset1:216
	ds_read_b32 v116, v80
	ds_read2_b32 v[110:111], v79 offset0:84 offset1:188
	ds_read_b32 v117, v83
	ds_read_b32 v118, v82
	ds_read2_b32 v[112:113], v63 offset0:4 offset1:108
	ds_read_b32 v119, v81
	ds_read_b32 v120, v78
	ds_read2_b32 v[114:115], v47 offset1:156
	ds_read_b32 v121, v77
	ds_read_b32 v64, v59
	v_mul_u32_u24_e32 v48, 26, v48
	s_waitcnt vmcnt(0) lgkmcnt(0)
	s_barrier
	buffer_gl0_inv
	v_or_b32_e32 v48, v48, v46
	v_lshl_add_u32 v48, v48, 2, 0
	v_mul_f32_e32 v94, v99, v1
	v_mul_f32_e32 v66, v104, v5
	;; [unrolled: 1-line block ×32, first 2 shown]
	v_fmac_f32_e32 v66, v44, v4
	v_mul_f32_e32 v139, v86, v21
	v_mul_f32_e32 v11, v118, v23
	v_fma_f32 v7, v105, v6, -v92
	v_fma_f32 v92, v104, v4, -v128
	v_mul_f32_e32 v104, v85, v23
	v_mul_f32_e32 v44, v113, v21
	;; [unrolled: 1-line block ×7, first 2 shown]
	v_fmac_f32_e32 v126, v45, v6
	v_fmac_f32_e32 v93, v91, v6
	v_fma_f32 v91, v97, v6, -v129
	v_mul_f32_e32 v45, v112, v19
	v_fmac_f32_e32 v96, v41, v4
	v_fma_f32 v4, v103, v4, -v127
	v_mul_f32_e32 v103, v30, v19
	v_mul_f32_e32 v127, v121, v17
	;; [unrolled: 1-line block ×3, first 2 shown]
	v_fmac_f32_e32 v95, v43, v2
	v_fmac_f32_e32 v58, v42, v0
	v_mul_f32_e32 v43, v87, v19
	v_mul_f32_e32 v42, v115, v17
	v_fma_f32 v41, v100, v0, -v124
	v_mul_f32_e32 v100, v29, v17
	v_fmac_f32_e32 v94, v35, v0
	v_fma_f32 v17, v99, v0, -v122
	v_fmac_f32_e32 v3, v37, v10
	v_fmac_f32_e32 v50, v36, v8
	v_fma_f32 v15, v107, v10, -v130
	v_fma_f32 v19, v106, v8, -v131
	v_fmac_f32_e32 v54, v34, v10
	v_fma_f32 v23, v98, v10, -v132
	v_fmac_f32_e32 v1, v33, v8
	;; [unrolled: 2-line block ×3, first 2 shown]
	v_fmac_f32_e32 v9, v89, v12
	v_fma_f32 v8, v117, v12, -v135
	v_fmac_f32_e32 v56, v39, v12
	v_fma_f32 v32, v111, v12, -v137
	;; [unrolled: 2-line block ×6, first 2 shown]
	v_fma_f32 v20, v121, v16, -v128
	v_fma_f32 v6, v101, v2, -v123
	v_fmac_f32_e32 v62, v40, v2
	v_fma_f32 v40, v102, v2, -v125
	v_fmac_f32_e32 v5, v88, v14
	v_fma_f32 v2, v116, v14, -v136
	v_fma_f32 v21, v108, v14, -v134
	v_fmac_f32_e32 v127, v90, v16
	v_fma_f32 v14, v120, v18, -v43
	v_fmac_f32_e32 v42, v29, v16
	v_sub_f32_e32 v29, v20, v7
	v_fmac_f32_e32 v97, v87, v18
	v_add_f32_e32 v31, v127, v126
	v_sub_f32_e32 v38, v14, v4
	v_add_f32_e32 v36, v20, v7
	v_mul_f32_e32 v37, 0xbf52af12, v29
	v_mul_f32_e32 v43, 0xbf7e222b, v29
	v_add_f32_e32 v39, v97, v96
	v_sub_f32_e32 v101, v12, v6
	v_mul_f32_e32 v110, 0xbf6f5d39, v38
	v_fmamk_f32 v99, v31, 0x3f116cb1, v37
	v_fmac_f32_e32 v45, v30, v18
	v_fma_f32 v30, v112, v18, -v103
	v_fma_f32 v18, v115, v16, -v100
	v_sub_f32_e32 v35, v127, v126
	v_add_f32_e32 v16, v114, v20
	v_mul_f32_e32 v20, 0xbeedf032, v29
	v_mul_f32_e32 v85, 0xbf6f5d39, v29
	;; [unrolled: 1-line block ×11, first 2 shown]
	v_fmamk_f32 v100, v31, 0x3df6dbef, v43
	v_add_f32_e32 v34, v28, v127
	v_add_f32_e32 v102, v13, v95
	v_sub_f32_e32 v103, v10, v17
	v_mul_f32_e32 v112, 0xbe750f2a, v101
	v_fmamk_f32 v136, v39, 0xbeb58ec6, v110
	v_add_f32_e32 v99, v28, v99
	v_mul_f32_e32 v113, 0x3f6f5d39, v101
	v_fmamk_f32 v90, v31, 0x3f62ad3f, v20
	v_fma_f32 v20, 0x3f62ad3f, v31, -v20
	v_fma_f32 v37, 0x3f116cb1, v31, -v37
	;; [unrolled: 1-line block ×3, first 2 shown]
	v_fmamk_f32 v129, v31, 0xbeb58ec6, v85
	v_fma_f32 v85, 0xbeb58ec6, v31, -v85
	v_fmamk_f32 v130, v31, 0xbf3f9e67, v86
	v_fma_f32 v86, 0xbf3f9e67, v31, -v86
	;; [unrolled: 2-line block ×3, first 2 shown]
	v_fmamk_f32 v31, v35, 0x3eedf032, v87
	v_fmac_f32_e32 v87, 0xbeedf032, v35
	v_fmamk_f32 v132, v35, 0x3f52af12, v88
	v_fmac_f32_e32 v88, 0xbf52af12, v35
	;; [unrolled: 2-line block ×6, first 2 shown]
	v_fmamk_f32 v35, v39, 0xbf788fa5, v111
	v_add_f32_e32 v100, v28, v100
	v_add_f32_e32 v104, v11, v94
	v_mul_f32_e32 v115, 0x3f29c268, v103
	v_add_f32_e32 v34, v34, v97
	v_fmamk_f32 v138, v102, 0xbf788fa5, v112
	v_add_f32_e32 v99, v136, v99
	v_sub_f32_e32 v105, v8, v15
	v_mul_f32_e32 v116, 0x3eedf032, v103
	v_fmamk_f32 v139, v102, 0xbeb58ec6, v113
	v_add_f32_e32 v35, v35, v100
	v_fmamk_f32 v140, v104, 0xbf3f9e67, v115
	v_add_f32_e32 v144, v28, v20
	v_add_f32_e32 v20, v138, v99
	;; [unrolled: 1-line block ×4, first 2 shown]
	v_sub_f32_e32 v107, v2, v0
	v_mul_f32_e32 v117, 0x3f7e222b, v105
	v_mul_f32_e32 v118, 0xbf52af12, v105
	v_fmamk_f32 v141, v104, 0x3f62ad3f, v116
	v_add_f32_e32 v35, v139, v35
	v_add_f32_e32 v140, v140, v20
	;; [unrolled: 1-line block ×5, first 2 shown]
	v_mul_f32_e32 v119, 0x3eedf032, v107
	v_mul_f32_e32 v120, 0xbf29c268, v107
	v_fmamk_f32 v136, v106, 0x3df6dbef, v117
	v_fmamk_f32 v142, v106, 0x3f116cb1, v118
	v_add_f32_e32 v35, v141, v35
	v_add_f32_e32 v31, v31, v9
	v_mul_f32_e32 v121, 0xbf52af12, v38
	v_add_f32_e32 v143, v28, v90
	v_add_f32_e32 v145, v28, v37
	;; [unrolled: 1-line block ×9, first 2 shown]
	v_fmamk_f32 v29, v108, 0x3f62ad3f, v119
	v_fmamk_f32 v138, v108, 0xbf3f9e67, v120
	v_add_f32_e32 v85, v114, v88
	v_add_f32_e32 v88, v136, v140
	;; [unrolled: 1-line block ×4, first 2 shown]
	v_mul_f32_e32 v122, 0xbf7e222b, v101
	v_mul_f32_e32 v127, 0x3f29c268, v38
	v_fmamk_f32 v37, v39, 0x3f116cb1, v121
	v_add_f32_e32 v29, v29, v88
	v_add_f32_e32 v35, v138, v35
	;; [unrolled: 1-line block ×3, first 2 shown]
	v_mul_f32_e32 v123, 0xbf6f5d39, v103
	v_mul_f32_e32 v128, 0x3f7e222b, v38
	v_fmamk_f32 v139, v102, 0x3df6dbef, v122
	v_add_f32_e32 v34, v37, v143
	v_add_f32_e32 v37, v114, v109
	ds_write2_b32 v48, v29, v35 offset0:4 offset1:6
	v_fmamk_f32 v35, v39, 0xbf3f9e67, v127
	v_mul_f32_e32 v109, 0x3eedf032, v101
	v_add_f32_e32 v31, v31, v3
	v_mul_f32_e32 v124, 0xbf29c268, v105
	v_fmamk_f32 v149, v104, 0xbeb58ec6, v123
	v_add_f32_e32 v43, v114, v87
	v_add_f32_e32 v99, v114, v132
	;; [unrolled: 1-line block ×10, first 2 shown]
	v_fmamk_f32 v36, v39, 0x3df6dbef, v128
	v_mul_f32_e32 v114, 0xbf52af12, v101
	v_add_f32_e32 v35, v35, v129
	v_fmamk_f32 v129, v102, 0x3f62ad3f, v109
	v_mul_f32_e32 v132, 0xbf7e222b, v103
	v_add_f32_e32 v31, v31, v94
	v_mul_f32_e32 v125, 0xbe750f2a, v107
	v_fmamk_f32 v141, v106, 0xbf3f9e67, v124
	v_add_f32_e32 v34, v149, v34
	v_add_f32_e32 v36, v36, v130
	v_fmamk_f32 v130, v102, 0x3f116cb1, v114
	v_mul_f32_e32 v133, 0x3e750f2a, v103
	v_add_f32_e32 v35, v129, v35
	v_fmamk_f32 v129, v104, 0x3df6dbef, v132
	v_mul_f32_e32 v134, 0x3e750f2a, v105
	v_add_f32_e32 v31, v31, v95
	v_add_f32_e32 v29, v141, v34
	v_fmamk_f32 v34, v108, 0xbf788fa5, v125
	v_add_f32_e32 v36, v130, v36
	v_fmamk_f32 v130, v104, 0xbf788fa5, v133
	v_mul_f32_e32 v135, 0x3eedf032, v105
	v_add_f32_e32 v35, v129, v35
	v_fmamk_f32 v129, v106, 0xbf788fa5, v134
	v_mul_f32_e32 v38, 0x3eedf032, v38
	v_add_f32_e32 v31, v31, v96
	v_add_f32_e32 v36, v130, v36
	v_fmamk_f32 v130, v106, 0x3f62ad3f, v135
	v_add_f32_e32 v29, v34, v29
	v_add_f32_e32 v34, v129, v35
	v_fmamk_f32 v35, v39, 0x3f62ad3f, v38
	v_mul_f32_e32 v101, 0xbf29c268, v101
	v_add_f32_e32 v31, v31, v126
	v_mul_f32_e32 v126, 0x3f52af12, v107
	v_mul_f32_e32 v129, 0xbf6f5d39, v107
	v_add_f32_e32 v36, v130, v36
	v_add_f32_e32 v35, v35, v131
	v_fma_f32 v38, 0x3f62ad3f, v39, -v38
	v_fmamk_f32 v130, v102, 0xbf3f9e67, v101
	v_mul_f32_e32 v103, 0x3f52af12, v103
	v_fmamk_f32 v131, v108, 0x3f116cb1, v126
	v_fmamk_f32 v136, v108, 0xbeb58ec6, v129
	v_add_f32_e32 v28, v38, v28
	v_add_f32_e32 v35, v130, v35
	v_fma_f32 v38, 0xbf3f9e67, v102, -v101
	v_fmamk_f32 v101, v104, 0x3f116cb1, v103
	v_mul_f32_e32 v105, 0xbf6f5d39, v105
	v_add_f32_e32 v34, v131, v34
	v_add_f32_e32 v36, v136, v36
	;; [unrolled: 1-line block ×4, first 2 shown]
	v_fma_f32 v38, 0x3f116cb1, v104, -v103
	v_fmamk_f32 v101, v106, 0xbeb58ec6, v105
	ds_write2_b32 v48, v31, v29 offset1:2
	ds_write2_b32 v48, v34, v36 offset0:8 offset1:10
	v_fma_f32 v29, 0xbf3f9e67, v39, -v127
	v_mul_f32_e32 v34, 0x3f7e222b, v107
	v_add_f32_e32 v28, v38, v28
	v_add_f32_e32 v31, v101, v35
	v_fma_f32 v35, 0x3df6dbef, v39, -v128
	v_add_f32_e32 v29, v29, v147
	v_fma_f32 v36, 0x3f62ad3f, v102, -v109
	v_fma_f32 v38, 0xbeb58ec6, v106, -v105
	v_fmamk_f32 v101, v108, 0x3df6dbef, v34
	v_add_f32_e32 v35, v35, v148
	v_fma_f32 v103, 0x3f116cb1, v102, -v114
	v_add_f32_e32 v29, v36, v29
	v_fma_f32 v36, 0x3df6dbef, v104, -v132
	;; [unrolled: 2-line block ×3, first 2 shown]
	v_add_f32_e32 v31, v101, v31
	v_add_f32_e32 v35, v103, v35
	v_add_f32_e32 v29, v36, v29
	v_fma_f32 v36, 0xbf788fa5, v104, -v133
	v_fma_f32 v101, 0xbf788fa5, v106, -v134
	;; [unrolled: 1-line block ×3, first 2 shown]
	v_add_f32_e32 v38, v38, v145
	v_fma_f32 v105, 0xbf788fa5, v102, -v112
	v_add_f32_e32 v35, v36, v35
	v_add_f32_e32 v29, v101, v29
	;; [unrolled: 1-line block ×3, first 2 shown]
	v_fma_f32 v101, 0x3f62ad3f, v106, -v135
	v_add_f32_e32 v38, v105, v38
	v_fma_f32 v103, 0xbeb58ec6, v102, -v113
	v_fma_f32 v105, 0xbf3f9e67, v104, -v115
	;; [unrolled: 1-line block ×3, first 2 shown]
	v_add_f32_e32 v35, v101, v35
	v_fma_f32 v107, 0xbeb58ec6, v108, -v129
	v_add_f32_e32 v36, v103, v36
	v_add_f32_e32 v38, v105, v38
	v_fma_f32 v103, 0x3f62ad3f, v104, -v116
	v_fma_f32 v105, 0x3df6dbef, v106, -v117
	;; [unrolled: 1-line block ×3, first 2 shown]
	v_add_f32_e32 v28, v34, v28
	v_add_f32_e32 v34, v107, v35
	;; [unrolled: 1-line block ×4, first 2 shown]
	v_fma_f32 v38, 0x3f116cb1, v106, -v118
	v_add_f32_e32 v29, v101, v29
	v_fma_f32 v101, 0x3f62ad3f, v108, -v119
	ds_write2_b32 v48, v31, v28 offset0:12 offset1:14
	ds_write2_b32 v48, v34, v29 offset0:16 offset1:18
	v_fma_f32 v28, 0x3f116cb1, v39, -v121
	v_add_f32_e32 v29, v38, v35
	v_sub_f32_e32 v34, v18, v91
	v_fma_f32 v35, 0xbf3f9e67, v108, -v120
	v_add_f32_e32 v31, v101, v36
	v_add_f32_e32 v28, v28, v144
	v_fma_f32 v36, 0x3df6dbef, v102, -v122
	v_add_f32_e32 v38, v42, v93
	v_mul_f32_e32 v39, 0xbeedf032, v34
	v_add_f32_e32 v101, v84, v42
	v_add_f32_e32 v29, v35, v29
	v_sub_f32_e32 v35, v30, v92
	v_add_f32_e32 v28, v36, v28
	v_fmamk_f32 v36, v38, 0x3f62ad3f, v39
	v_add_f32_e32 v101, v101, v45
	v_add_f32_e32 v102, v45, v66
	v_mul_f32_e32 v103, 0xbf52af12, v35
	v_fma_f32 v104, 0xbeb58ec6, v104, -v123
	v_sub_f32_e32 v105, v22, v40
	v_add_f32_e32 v101, v101, v44
	v_add_f32_e32 v36, v84, v36
	v_fmamk_f32 v107, v102, 0x3f116cb1, v103
	v_add_f32_e32 v109, v44, v62
	v_mul_f32_e32 v110, 0xbf7e222b, v105
	v_add_f32_e32 v28, v104, v28
	v_sub_f32_e32 v104, v33, v41
	v_add_f32_e32 v101, v101, v60
	v_add_f32_e32 v36, v107, v36
	v_fmamk_f32 v107, v109, 0x3df6dbef, v110
	v_add_f32_e32 v111, v60, v58
	v_mul_f32_e32 v112, 0xbf6f5d39, v104
	v_fma_f32 v106, 0xbf3f9e67, v106, -v124
	v_sub_f32_e32 v113, v32, v23
	v_add_f32_e32 v101, v101, v56
	v_add_f32_e32 v36, v107, v36
	v_fmamk_f32 v107, v111, 0xbeb58ec6, v112
	v_add_f32_e32 v114, v56, v54
	v_mul_f32_e32 v115, 0xbf29c268, v113
	v_add_f32_e32 v28, v106, v28
	v_sub_f32_e32 v106, v21, v19
	v_add_f32_e32 v101, v101, v52
	v_add_f32_e32 v36, v107, v36
	v_fmamk_f32 v107, v114, 0xbf3f9e67, v115
	v_add_f32_e32 v116, v52, v50
	v_mul_f32_e32 v117, 0xbe750f2a, v106
	v_fma_f32 v108, 0xbf788fa5, v108, -v125
	v_mul_f32_e32 v119, 0xbf52af12, v34
	v_add_f32_e32 v101, v101, v50
	v_add_f32_e32 v36, v107, v36
	v_fmamk_f32 v107, v116, 0xbf788fa5, v117
	v_add_f32_e32 v28, v108, v28
	ds_write2_b32 v48, v29, v31 offset0:20 offset1:22
	v_fmamk_f32 v29, v38, 0x3f116cb1, v119
	v_mul_f32_e32 v31, 0xbf6f5d39, v35
	v_mul_f32_e32 v108, 0xbf7e222b, v34
	v_lshrrev_b32_e32 v118, 1, v68
	v_add_f32_e32 v101, v101, v54
	v_add_f32_e32 v36, v107, v36
	ds_write_b32 v48, v28 offset:96
	v_add_f32_e32 v28, v84, v29
	v_fmamk_f32 v29, v102, 0xbeb58ec6, v31
	v_fmamk_f32 v107, v38, 0x3df6dbef, v108
	v_mul_f32_e32 v120, 0xbe750f2a, v35
	v_mul_f32_e32 v121, 0xbe750f2a, v105
	v_mul_lo_u32 v118, v118, 26
	v_add_f32_e32 v101, v101, v58
	v_add_f32_e32 v28, v29, v28
	;; [unrolled: 1-line block ×3, first 2 shown]
	v_fmamk_f32 v107, v102, 0xbf788fa5, v120
	v_fmamk_f32 v122, v109, 0xbf788fa5, v121
	v_mul_f32_e32 v123, 0x3f6f5d39, v105
	v_mul_f32_e32 v124, 0x3f29c268, v104
	v_add_f32_e32 v101, v101, v62
	v_or_b32_e32 v46, v118, v46
	v_add_f32_e32 v29, v107, v29
	v_add_f32_e32 v28, v122, v28
	v_fmamk_f32 v107, v109, 0xbeb58ec6, v123
	v_fmamk_f32 v118, v111, 0xbf3f9e67, v124
	v_mul_f32_e32 v122, 0x3eedf032, v104
	v_add_f32_e32 v101, v101, v66
	v_mul_f32_e32 v125, 0x3f7e222b, v113
	v_add_f32_e32 v29, v107, v29
	v_add_f32_e32 v107, v118, v28
	v_fmamk_f32 v118, v111, 0x3f62ad3f, v122
	v_mul_f32_e32 v126, 0xbf52af12, v113
	v_add_f32_e32 v101, v101, v93
	v_fmamk_f32 v127, v114, 0x3df6dbef, v125
	v_mul_f32_e32 v128, 0x3eedf032, v106
	v_lshl_add_u32 v28, v46, 2, 0
	v_add_f32_e32 v29, v118, v29
	v_fmamk_f32 v46, v114, 0x3f116cb1, v126
	v_add_f32_e32 v107, v127, v107
	v_fmamk_f32 v118, v116, 0x3f62ad3f, v128
	ds_write2_b32 v28, v101, v36 offset1:2
	v_mul_f32_e32 v36, 0xbf6f5d39, v34
	v_add_f32_e32 v29, v46, v29
	v_mul_f32_e32 v46, 0xbf29c268, v34
	v_add_f32_e32 v101, v118, v107
	v_mul_f32_e32 v107, 0xbf29c268, v106
	v_fmamk_f32 v118, v38, 0xbeb58ec6, v36
	v_mul_f32_e32 v127, 0x3f29c268, v35
	v_fmamk_f32 v129, v38, 0xbf3f9e67, v46
	;; [unrolled: 2-line block ×3, first 2 shown]
	v_add_f32_e32 v118, v84, v118
	v_fmamk_f32 v132, v102, 0xbf3f9e67, v127
	v_add_f32_e32 v129, v84, v129
	v_fmamk_f32 v133, v102, 0x3df6dbef, v130
	v_mul_f32_e32 v134, 0x3eedf032, v105
	v_mul_f32_e32 v135, 0xbf52af12, v105
	v_add_f32_e32 v29, v131, v29
	v_add_f32_e32 v118, v132, v118
	;; [unrolled: 1-line block ×3, first 2 shown]
	v_fmamk_f32 v131, v109, 0x3f62ad3f, v134
	v_fmamk_f32 v132, v109, 0x3f116cb1, v135
	v_mul_f32_e32 v133, 0xbf7e222b, v104
	v_mul_f32_e32 v136, 0x3e750f2a, v104
	ds_write2_b32 v28, v101, v29 offset0:4 offset1:6
	v_add_f32_e32 v29, v131, v118
	v_add_f32_e32 v101, v132, v129
	v_fmamk_f32 v118, v111, 0x3df6dbef, v133
	v_fmamk_f32 v129, v111, 0xbf788fa5, v136
	v_mul_f32_e32 v131, 0x3e750f2a, v113
	v_mul_f32_e32 v132, 0x3eedf032, v113
	v_mul_f32_e32 v34, 0xbe750f2a, v34
	v_add_f32_e32 v29, v118, v29
	v_add_f32_e32 v101, v129, v101
	v_fmamk_f32 v118, v114, 0xbf788fa5, v131
	v_fmamk_f32 v129, v114, 0x3f62ad3f, v132
	v_fmamk_f32 v137, v38, 0xbf788fa5, v34
	v_mul_f32_e32 v35, 0x3eedf032, v35
	v_fma_f32 v34, 0xbf788fa5, v38, -v34
	v_add_f32_e32 v29, v118, v29
	v_add_f32_e32 v101, v129, v101
	;; [unrolled: 1-line block ×3, first 2 shown]
	v_fmamk_f32 v129, v102, 0x3f62ad3f, v35
	v_add_f32_e32 v34, v84, v34
	v_fma_f32 v35, 0x3f62ad3f, v102, -v35
	v_mul_f32_e32 v105, 0xbf29c268, v105
	v_mul_f32_e32 v137, 0x3f52af12, v106
	;; [unrolled: 1-line block ×3, first 2 shown]
	v_add_f32_e32 v118, v129, v118
	v_add_f32_e32 v34, v35, v34
	v_fmamk_f32 v35, v109, 0xbf3f9e67, v105
	v_fma_f32 v105, 0xbf3f9e67, v109, -v105
	v_mul_f32_e32 v104, 0x3f52af12, v104
	v_fmamk_f32 v129, v116, 0x3f116cb1, v137
	v_fmamk_f32 v139, v116, 0xbeb58ec6, v138
	v_add_f32_e32 v35, v35, v118
	v_add_f32_e32 v34, v105, v34
	v_fmamk_f32 v105, v111, 0x3f116cb1, v104
	v_mul_f32_e32 v113, 0xbf6f5d39, v113
	v_fma_f32 v104, 0x3f116cb1, v111, -v104
	v_add_f32_e32 v29, v129, v29
	v_add_f32_e32 v101, v139, v101
	;; [unrolled: 1-line block ×3, first 2 shown]
	v_fmamk_f32 v105, v114, 0xbeb58ec6, v113
	v_add_f32_e32 v34, v104, v34
	v_fma_f32 v104, 0xbeb58ec6, v114, -v113
	ds_write2_b32 v28, v29, v101 offset0:8 offset1:10
	v_mul_f32_e32 v29, 0x3f7e222b, v106
	v_fma_f32 v36, 0xbeb58ec6, v38, -v36
	v_add_f32_e32 v35, v105, v35
	v_add_f32_e32 v34, v104, v34
	v_fma_f32 v46, 0xbf3f9e67, v38, -v46
	v_fmamk_f32 v101, v116, 0x3df6dbef, v29
	v_fma_f32 v29, 0x3df6dbef, v116, -v29
	v_add_f32_e32 v36, v84, v36
	v_fma_f32 v104, 0xbf3f9e67, v102, -v127
	v_add_f32_e32 v46, v84, v46
	;; [unrolled: 2-line block ×3, first 2 shown]
	v_add_f32_e32 v29, v29, v34
	v_add_f32_e32 v34, v104, v36
	v_fma_f32 v36, 0x3f62ad3f, v109, -v134
	v_add_f32_e32 v46, v105, v46
	v_fma_f32 v101, 0x3f116cb1, v109, -v135
	v_fma_f32 v104, 0x3f116cb1, v38, -v119
	ds_write2_b32 v28, v35, v29 offset0:12 offset1:14
	v_add_f32_e32 v29, v36, v34
	v_fma_f32 v34, 0x3df6dbef, v111, -v133
	v_add_f32_e32 v35, v101, v46
	v_add_f32_e32 v36, v84, v104
	v_fma_f32 v31, 0xbeb58ec6, v102, -v31
	v_fma_f32 v46, 0x3df6dbef, v38, -v108
	v_add_f32_e32 v29, v34, v29
	v_fma_f32 v34, 0xbf788fa5, v111, -v136
	v_fma_f32 v101, 0xbf788fa5, v114, -v131
	v_add_f32_e32 v31, v31, v36
	v_add_f32_e32 v36, v84, v46
	v_fma_f32 v46, 0xbf788fa5, v102, -v120
	v_add_f32_e32 v34, v34, v35
	v_fma_f32 v35, 0x3f62ad3f, v114, -v132
	;; [unrolled: 2-line block ×5, first 2 shown]
	v_add_f32_e32 v16, v16, v14
	v_add_f32_e32 v31, v104, v31
	;; [unrolled: 1-line block ×3, first 2 shown]
	v_fma_f32 v46, 0x3f62ad3f, v111, -v122
	v_add_f32_e32 v29, v35, v29
	v_fma_f32 v35, 0xbeb58ec6, v116, -v138
	v_fma_f32 v101, 0xbf3f9e67, v111, -v124
	v_sub_f32_e32 v95, v13, v95
	v_add_f32_e32 v36, v46, v36
	v_fma_f32 v46, 0x3f116cb1, v114, -v126
	v_add_f32_e32 v34, v35, v34
	v_fma_f32 v35, 0x3f62ad3f, v38, -v39
	v_fma_f32 v13, 0x3df6dbef, v109, -v110
	v_add_f32_e32 v16, v16, v12
	v_add_f32_e32 v36, v46, v36
	;; [unrolled: 1-line block ×4, first 2 shown]
	v_fma_f32 v35, 0x3f116cb1, v102, -v103
	v_add_f32_e32 v31, v101, v31
	v_fma_f32 v101, 0x3df6dbef, v114, -v125
	v_sub_f32_e32 v84, v97, v96
	v_add_f32_e32 v97, v12, v6
	v_add_f32_e32 v14, v35, v14
	v_mul_f32_e32 v113, 0xbf788fa5, v46
	v_add_f32_e32 v16, v16, v10
	v_add_f32_e32 v31, v101, v31
	v_fma_f32 v101, 0x3f62ad3f, v116, -v128
	v_add_f32_e32 v13, v13, v14
	v_fma_f32 v14, 0xbeb58ec6, v111, -v112
	v_mul_f32_e32 v112, 0xbeb58ec6, v46
	v_fma_f32 v38, 0xbf3f9e67, v116, -v107
	v_add_f32_e32 v102, v10, v17
	v_sub_f32_e32 v94, v11, v94
	v_fma_f32 v11, 0xbf3f9e67, v114, -v115
	v_sub_f32_e32 v108, v5, v1
	v_fma_f32 v1, 0xbf788fa5, v116, -v117
	v_fmamk_f32 v114, v84, 0x3f6f5d39, v112
	v_fmamk_f32 v115, v84, 0x3e750f2a, v113
	v_mul_f32_e32 v116, 0xbf788fa5, v97
	v_mul_f32_e32 v117, 0xbeb58ec6, v97
	v_add_f32_e32 v16, v16, v8
	v_add_f32_e32 v104, v8, v15
	;; [unrolled: 1-line block ×4, first 2 shown]
	v_fmamk_f32 v114, v95, 0x3e750f2a, v116
	v_fmamk_f32 v115, v95, 0xbf6f5d39, v117
	v_mul_f32_e32 v118, 0xbf3f9e67, v102
	v_mul_f32_e32 v119, 0x3f62ad3f, v102
	v_add_f32_e32 v16, v16, v2
	v_sub_f32_e32 v105, v9, v3
	v_add_f32_e32 v99, v114, v99
	v_add_f32_e32 v100, v115, v100
	v_fmamk_f32 v114, v94, 0xbf29c268, v118
	v_fmamk_f32 v115, v94, 0xbeedf032, v119
	v_mul_f32_e32 v120, 0x3df6dbef, v104
	v_mul_f32_e32 v121, 0x3f116cb1, v104
	v_add_f32_e32 v16, v16, v0
	v_mul_f32_e32 v96, 0x3f116cb1, v46
	v_add_f32_e32 v99, v114, v99
	v_add_f32_e32 v100, v115, v100
	v_fmamk_f32 v114, v105, 0xbf7e222b, v120
	v_fmamk_f32 v115, v105, 0x3f52af12, v121
	v_mul_f32_e32 v122, 0xbf3f9e67, v46
	v_mul_f32_e32 v123, 0x3df6dbef, v46
	;; [unrolled: 1-line block ×3, first 2 shown]
	v_fmac_f32_e32 v113, 0xbe750f2a, v84
	v_add_f32_e32 v12, v16, v15
	v_fmamk_f32 v16, v84, 0x3f52af12, v96
	v_add_f32_e32 v99, v114, v99
	v_add_f32_e32 v100, v115, v100
	v_fmamk_f32 v114, v84, 0xbf29c268, v122
	v_fmamk_f32 v115, v84, 0xbf7e222b, v123
	;; [unrolled: 1-line block ×3, first 2 shown]
	v_fmac_f32_e32 v46, 0x3eedf032, v84
	v_fmac_f32_e32 v96, 0xbf52af12, v84
	;; [unrolled: 1-line block ×5, first 2 shown]
	v_add_f32_e32 v84, v113, v86
	v_add_f32_e32 v86, v64, v18
	v_mul_f32_e32 v125, 0x3f62ad3f, v97
	v_mul_f32_e32 v126, 0x3f116cb1, v97
	v_add_f32_e32 v31, v101, v31
	v_mul_f32_e32 v101, 0x3df6dbef, v97
	v_add_f32_e32 v86, v86, v30
	v_add_f32_e32 v90, v114, v90
	v_add_f32_e32 v98, v115, v98
	v_fmamk_f32 v114, v95, 0xbeedf032, v125
	v_fmamk_f32 v115, v95, 0x3f52af12, v126
	v_add_f32_e32 v86, v86, v22
	v_mul_f32_e32 v128, 0x3df6dbef, v102
	v_mul_f32_e32 v129, 0xbf788fa5, v102
	;; [unrolled: 1-line block ×3, first 2 shown]
	v_add_f32_e32 v16, v16, v20
	v_add_f32_e32 v86, v86, v33
	v_fmamk_f32 v10, v95, 0x3f7e222b, v101
	v_mul_f32_e32 v103, 0xbeb58ec6, v102
	v_add_f32_e32 v107, v2, v0
	v_add_f32_e32 v90, v114, v90
	;; [unrolled: 1-line block ×4, first 2 shown]
	v_fmamk_f32 v114, v94, 0x3f7e222b, v128
	v_fmamk_f32 v115, v94, 0xbe750f2a, v129
	v_add_f32_e32 v88, v131, v88
	v_add_f32_e32 v86, v86, v21
	;; [unrolled: 1-line block ×3, first 2 shown]
	v_fmamk_f32 v89, v95, 0x3f29c268, v97
	v_fmac_f32_e32 v97, 0xbf29c268, v95
	v_mul_f32_e32 v102, 0x3f116cb1, v102
	v_add_f32_e32 v12, v12, v17
	v_add_f32_e32 v10, v10, v16
	;; [unrolled: 1-line block ×3, first 2 shown]
	v_fmamk_f32 v13, v94, 0x3f6f5d39, v103
	v_mul_f32_e32 v106, 0xbf3f9e67, v104
	v_add_f32_e32 v86, v86, v19
	v_mul_f32_e32 v124, 0x3f62ad3f, v107
	v_add_f32_e32 v90, v114, v90
	v_add_f32_e32 v98, v115, v98
	v_mul_f32_e32 v114, 0xbf788fa5, v104
	v_mul_f32_e32 v115, 0x3f62ad3f, v104
	v_add_f32_e32 v88, v89, v88
	v_add_f32_e32 v46, v97, v46
	v_fmamk_f32 v89, v94, 0xbf52af12, v102
	v_fmac_f32_e32 v102, 0x3f52af12, v94
	v_mul_f32_e32 v97, 0xbeb58ec6, v104
	v_add_f32_e32 v3, v12, v6
	v_add_f32_e32 v0, v13, v10
	v_fmamk_f32 v6, v105, 0x3f29c268, v106
	v_mul_f32_e32 v109, 0xbf788fa5, v107
	v_add_f32_e32 v86, v86, v23
	v_fmamk_f32 v127, v108, 0xbeedf032, v124
	v_mul_f32_e32 v130, 0xbf3f9e67, v107
	v_fmamk_f32 v132, v105, 0xbe750f2a, v114
	v_fmamk_f32 v133, v105, 0xbeedf032, v115
	v_mul_f32_e32 v104, 0x3f116cb1, v107
	v_mul_f32_e32 v131, 0xbeb58ec6, v107
	v_add_f32_e32 v88, v89, v88
	v_add_f32_e32 v46, v102, v46
	v_fmamk_f32 v89, v105, 0x3f6f5d39, v97
	v_fmac_f32_e32 v97, 0xbf6f5d39, v105
	v_mul_f32_e32 v102, 0x3df6dbef, v107
	v_add_f32_e32 v2, v11, v8
	v_add_f32_e32 v3, v3, v4
	v_add_f32_e32 v0, v6, v0
	v_fmamk_f32 v4, v108, 0x3e750f2a, v109
	v_add_f32_e32 v86, v86, v41
	v_add_f32_e32 v99, v127, v99
	v_fmamk_f32 v127, v108, 0x3f29c268, v130
	v_add_f32_e32 v90, v132, v90
	v_add_f32_e32 v98, v133, v98
	v_fmamk_f32 v107, v108, 0xbf52af12, v104
	v_fmamk_f32 v132, v108, 0x3f6f5d39, v131
	v_add_f32_e32 v88, v89, v88
	v_add_f32_e32 v46, v97, v46
	v_fmamk_f32 v89, v108, 0xbf7e222b, v102
	v_fmac_f32_e32 v102, 0x3f7e222b, v108
	v_add_f32_e32 v1, v1, v2
	v_add_f32_e32 v110, v3, v7
	;; [unrolled: 1-line block ×11, first 2 shown]
	ds_write2_b32 v28, v34, v29 offset0:16 offset1:18
	ds_write2_b32 v28, v5, v31 offset0:20 offset1:22
	ds_write_b32 v28, v1 offset:96
	s_waitcnt lgkmcnt(0)
	s_barrier
	buffer_gl0_inv
	ds_read_b32 v36, v81
	ds_read_b32 v34, v82
	;; [unrolled: 1-line block ×7, first 2 shown]
	ds_read_b32 v35, v47 offset:5200
	ds_read2_b32 v[0:1], v47 offset1:156
	ds_read2_b32 v[4:5], v51 offset0:164 offset1:216
	ds_read2_b32 v[6:7], v55 offset0:12 offset1:64
	;; [unrolled: 1-line block ×8, first 2 shown]
	s_waitcnt lgkmcnt(0)
	s_barrier
	buffer_gl0_inv
	ds_write2_b32 v48, v110, v111 offset1:2
	ds_write2_b32 v48, v99, v97 offset0:4 offset1:6
	ds_write2_b32 v48, v90, v98 offset0:8 offset1:10
	;; [unrolled: 1-line block ×3, first 2 shown]
	v_add_f32_e32 v46, v112, v85
	v_add_f32_e32 v85, v122, v87
	v_fmac_f32_e32 v101, 0xbf7e222b, v95
	v_fmac_f32_e32 v116, 0xbe750f2a, v95
	;; [unrolled: 1-line block ×5, first 2 shown]
	v_add_f32_e32 v86, v86, v92
	v_sub_f32_e32 v42, v42, v93
	v_mul_f32_e32 v87, 0x3f62ad3f, v18
	v_mul_f32_e32 v88, 0x3f116cb1, v18
	;; [unrolled: 1-line block ×5, first 2 shown]
	v_add_f32_e32 v30, v30, v92
	v_add_f32_e32 v43, v96, v43
	v_fmac_f32_e32 v103, 0xbf6f5d39, v94
	v_fmac_f32_e32 v118, 0x3f29c268, v94
	;; [unrolled: 1-line block ×5, first 2 shown]
	v_add_f32_e32 v86, v86, v91
	v_fmamk_f32 v89, v42, 0x3eedf032, v87
	v_fmamk_f32 v91, v42, 0x3f52af12, v88
	;; [unrolled: 1-line block ×3, first 2 shown]
	v_mul_f32_e32 v18, 0xbf788fa5, v18
	v_fmamk_f32 v96, v42, 0x3f6f5d39, v93
	v_fmamk_f32 v97, v42, 0x3f29c268, v95
	v_sub_f32_e32 v45, v45, v66
	v_mul_f32_e32 v66, 0x3f116cb1, v30
	v_fmac_f32_e32 v87, 0xbeedf032, v42
	v_fmac_f32_e32 v88, 0xbf52af12, v42
	;; [unrolled: 1-line block ×5, first 2 shown]
	v_fmamk_f32 v98, v42, 0x3e750f2a, v18
	v_fmac_f32_e32 v18, 0xbe750f2a, v42
	v_add_f32_e32 v42, v64, v89
	v_add_f32_e32 v89, v64, v91
	;; [unrolled: 1-line block ×5, first 2 shown]
	v_fmamk_f32 v96, v45, 0x3f52af12, v66
	v_mul_f32_e32 v97, 0xbeb58ec6, v30
	v_add_f32_e32 v87, v64, v87
	v_add_f32_e32 v88, v64, v88
	;; [unrolled: 1-line block ×8, first 2 shown]
	v_fmamk_f32 v64, v45, 0x3f6f5d39, v97
	v_mul_f32_e32 v96, 0xbf788fa5, v30
	v_fmac_f32_e32 v66, 0xbf52af12, v45
	v_fmac_f32_e32 v97, 0xbf6f5d39, v45
	v_add_f32_e32 v22, v22, v40
	v_add_f32_e32 v64, v64, v89
	v_fmamk_f32 v89, v45, 0x3e750f2a, v96
	v_add_f32_e32 v66, v66, v87
	v_mul_f32_e32 v87, 0xbf3f9e67, v30
	v_add_f32_e32 v88, v97, v88
	v_sub_f32_e32 v44, v44, v62
	v_add_f32_e32 v89, v89, v91
	v_mul_f32_e32 v91, 0x3df6dbef, v30
	v_fmamk_f32 v97, v45, 0xbf29c268, v87
	v_fmac_f32_e32 v87, 0x3f29c268, v45
	v_mul_f32_e32 v30, 0x3f62ad3f, v30
	v_mul_f32_e32 v62, 0x3df6dbef, v22
	v_fmamk_f32 v40, v45, 0xbf7e222b, v91
	v_fmac_f32_e32 v91, 0x3f7e222b, v45
	v_fmac_f32_e32 v96, 0xbe750f2a, v45
	v_add_f32_e32 v87, v87, v93
	v_fmamk_f32 v93, v45, 0xbeedf032, v30
	v_fmac_f32_e32 v30, 0x3eedf032, v45
	v_add_f32_e32 v40, v40, v94
	v_add_f32_e32 v45, v91, v95
	v_fmamk_f32 v91, v44, 0x3f7e222b, v62
	v_mul_f32_e32 v94, 0xbf788fa5, v22
	v_add_f32_e32 v18, v30, v18
	v_add_f32_e32 v90, v96, v90
	v_fmac_f32_e32 v62, 0xbf7e222b, v44
	v_add_f32_e32 v30, v91, v42
	v_fmamk_f32 v42, v44, 0x3e750f2a, v94
	v_mul_f32_e32 v91, 0xbeb58ec6, v22
	v_fmac_f32_e32 v94, 0xbe750f2a, v44
	v_add_f32_e32 v62, v62, v66
	v_mul_f32_e32 v66, 0x3f62ad3f, v22
	v_add_f32_e32 v42, v42, v64
	v_fmamk_f32 v64, v44, 0xbf6f5d39, v91
	v_fmac_f32_e32 v91, 0x3f6f5d39, v44
	v_add_f32_e32 v33, v33, v41
	v_add_f32_e32 v88, v94, v88
	v_fmamk_f32 v94, v44, 0xbeedf032, v66
	v_add_f32_e32 v64, v64, v89
	v_add_f32_e32 v89, v91, v90
	v_mul_f32_e32 v90, 0x3f116cb1, v22
	v_fmac_f32_e32 v66, 0x3eedf032, v44
	v_mul_f32_e32 v22, 0xbf3f9e67, v22
	v_sub_f32_e32 v58, v60, v58
	v_mul_f32_e32 v60, 0xbeb58ec6, v33
	v_fmamk_f32 v41, v44, 0x3f52af12, v90
	v_fmac_f32_e32 v90, 0xbf52af12, v44
	v_add_f32_e32 v66, v66, v87
	v_fmamk_f32 v87, v44, 0x3f29c268, v22
	v_fmac_f32_e32 v22, 0xbf29c268, v44
	v_add_f32_e32 v40, v41, v40
	v_add_f32_e32 v41, v90, v45
	v_fmamk_f32 v44, v58, 0x3f6f5d39, v60
	v_mul_f32_e32 v45, 0xbf3f9e67, v33
	v_add_f32_e32 v18, v22, v18
	v_fmac_f32_e32 v60, 0xbf6f5d39, v58
	v_add_f32_e32 v23, v32, v23
	v_add_f32_e32 v22, v44, v30
	v_fmamk_f32 v30, v58, 0xbf29c268, v45
	v_mul_f32_e32 v44, 0x3f62ad3f, v33
	v_add_f32_e32 v60, v60, v62
	v_fmac_f32_e32 v45, 0x3f29c268, v58
	v_mul_f32_e32 v62, 0x3df6dbef, v33
	v_add_f32_e32 v30, v30, v42
	v_fmamk_f32 v42, v58, 0xbeedf032, v44
	v_mul_f32_e32 v32, 0x3f116cb1, v33
	v_add_f32_e32 v45, v45, v88
	v_fmamk_f32 v88, v58, 0x3f7e222b, v62
	v_fmac_f32_e32 v62, 0xbf7e222b, v58
	v_add_f32_e32 v42, v42, v64
	v_mul_f32_e32 v64, 0xbf788fa5, v33
	v_sub_f32_e32 v54, v56, v54
	v_mul_f32_e32 v56, 0xbf3f9e67, v23
	v_fmac_f32_e32 v44, 0x3eedf032, v58
	v_add_f32_e32 v62, v62, v66
	v_fmamk_f32 v33, v58, 0xbe750f2a, v64
	v_fmac_f32_e32 v64, 0x3e750f2a, v58
	v_fmamk_f32 v66, v58, 0xbf52af12, v32
	v_fmac_f32_e32 v32, 0x3f52af12, v58
	v_mul_f32_e32 v58, 0x3df6dbef, v23
	v_add_f32_e32 v33, v33, v40
	v_add_f32_e32 v40, v64, v41
	v_fmamk_f32 v41, v54, 0x3f29c268, v56
	v_add_f32_e32 v18, v32, v18
	v_fmamk_f32 v32, v54, 0xbf7e222b, v58
	v_add_f32_e32 v92, v97, v92
	v_fmac_f32_e32 v56, 0xbf29c268, v54
	v_add_f32_e32 v22, v41, v22
	v_mul_f32_e32 v41, 0x3f116cb1, v23
	v_add_f32_e32 v30, v32, v30
	v_add_f32_e32 v91, v94, v92
	;; [unrolled: 1-line block ×3, first 2 shown]
	v_fmac_f32_e32 v58, 0x3f7e222b, v54
	v_fmamk_f32 v32, v54, 0x3f52af12, v41
	v_mul_f32_e32 v60, 0xbf788fa5, v23
	v_add_f32_e32 v19, v21, v19
	v_add_f32_e32 v44, v44, v89
	;; [unrolled: 1-line block ×4, first 2 shown]
	v_mul_f32_e32 v42, 0x3f62ad3f, v23
	v_fmac_f32_e32 v41, 0xbf52af12, v54
	v_add_f32_e32 v45, v58, v45
	v_fmamk_f32 v58, v54, 0xbe750f2a, v60
	v_fmac_f32_e32 v60, 0x3e750f2a, v54
	v_mul_f32_e32 v21, 0xbeb58ec6, v23
	v_fmamk_f32 v23, v54, 0xbeedf032, v42
	v_fmac_f32_e32 v42, 0x3eedf032, v54
	v_sub_f32_e32 v50, v52, v50
	v_mul_f32_e32 v52, 0xbf788fa5, v19
	v_add_f32_e32 v93, v93, v98
	v_add_f32_e32 v41, v41, v44
	v_add_f32_e32 v44, v58, v88
	v_add_f32_e32 v58, v60, v62
	v_fmamk_f32 v60, v54, 0x3f6f5d39, v21
	v_fmac_f32_e32 v21, 0xbf6f5d39, v54
	v_add_f32_e32 v23, v23, v33
	v_add_f32_e32 v33, v42, v40
	v_fmamk_f32 v40, v50, 0x3e750f2a, v52
	v_mul_f32_e32 v42, 0x3f62ad3f, v19
	v_add_f32_e32 v87, v87, v93
	v_add_f32_e32 v18, v21, v18
	v_fmac_f32_e32 v52, 0xbe750f2a, v50
	v_add_f32_e32 v21, v40, v22
	v_fmamk_f32 v22, v50, 0xbeedf032, v42
	v_mul_f32_e32 v40, 0xbf3f9e67, v19
	v_add_f32_e32 v64, v66, v87
	v_fmac_f32_e32 v42, 0x3eedf032, v50
	v_add_f32_e32 v52, v52, v56
	v_mul_f32_e32 v56, 0x3f116cb1, v19
	v_add_f32_e32 v22, v22, v30
	v_fmamk_f32 v30, v50, 0x3f29c268, v40
	v_add_f32_e32 v54, v60, v64
	v_add_f32_e32 v60, v42, v45
	v_fmac_f32_e32 v40, 0xbf29c268, v50
	v_fmamk_f32 v42, v50, 0xbf52af12, v56
	v_add_f32_e32 v30, v30, v32
	v_mul_f32_e32 v32, 0xbeb58ec6, v19
	v_add_f32_e32 v37, v123, v37
	v_fmac_f32_e32 v56, 0x3f52af12, v50
	v_add_f32_e32 v40, v40, v41
	v_add_f32_e32 v41, v42, v44
	v_mul_f32_e32 v19, 0x3df6dbef, v19
	v_fmamk_f32 v45, v50, 0x3f6f5d39, v32
	v_subrev_nc_u32_e32 v42, 26, v67
	v_add_f32_e32 v46, v116, v46
	v_add_f32_e32 v84, v117, v84
	;; [unrolled: 1-line block ×6, first 2 shown]
	v_fmamk_f32 v56, v50, 0xbf7e222b, v19
	v_fmac_f32_e32 v19, 0x3f7e222b, v50
	v_add_f32_e32 v23, v45, v23
	v_cndmask_b32_e64 v45, v42, v67, s0
	v_add_f32_e32 v46, v118, v46
	v_add_f32_e32 v84, v119, v84
	;; [unrolled: 1-line block ×4, first 2 shown]
	v_fmac_f32_e32 v120, 0x3f7e222b, v105
	v_fmac_f32_e32 v121, 0xbf52af12, v105
	;; [unrolled: 1-line block ×4, first 2 shown]
	v_add_f32_e32 v43, v103, v43
	v_fmac_f32_e32 v106, 0xbf29c268, v105
	v_fmac_f32_e32 v32, 0xbf6f5d39, v50
	v_add_f32_e32 v50, v19, v18
	v_mul_i32_i24_e32 v18, 12, v45
	v_mov_b32_e32 v19, 0
	v_add_f32_e32 v46, v120, v46
	v_add_f32_e32 v84, v121, v84
	;; [unrolled: 1-line block ×4, first 2 shown]
	v_fmac_f32_e32 v124, 0x3eedf032, v108
	v_fmac_f32_e32 v130, 0xbf29c268, v108
	;; [unrolled: 1-line block ×4, first 2 shown]
	v_add_f32_e32 v43, v106, v43
	v_fmac_f32_e32 v109, 0xbe750f2a, v108
	v_lshlrev_b64 v[18:19], 3, v[18:19]
	v_add_f32_e32 v46, v124, v46
	v_add_f32_e32 v84, v130, v84
	;; [unrolled: 1-line block ×5, first 2 shown]
	v_add_co_u32 v18, s1, s8, v18
	v_add_co_ci_u32_e64 v19, s1, s9, v19, s1
	ds_write2_b32 v48, v37, v85 offset0:16 offset1:18
	ds_write2_b32 v48, v84, v46 offset0:20 offset1:22
	ds_write_b32 v48, v43 offset:96
	ds_write2_b32 v28, v86, v21 offset1:2
	ds_write2_b32 v28, v22, v30 offset0:4 offset1:6
	v_and_b32_e32 v21, 0xff, v68
	v_add_f32_e32 v32, v32, v33
	v_add_f32_e32 v33, v56, v54
	ds_write2_b32 v28, v41, v23 offset0:8 offset1:10
	ds_write2_b32 v28, v33, v50 offset0:12 offset1:14
	;; [unrolled: 1-line block ×4, first 2 shown]
	v_mul_lo_u16 v21, 0x4f, v21
	ds_write_b32 v28, v52 offset:96
	s_waitcnt lgkmcnt(0)
	s_barrier
	buffer_gl0_inv
	s_clause 0x1
	global_load_dwordx4 v[84:87], v[18:19], off offset:192
	global_load_dwordx4 v[93:96], v[18:19], off offset:208
	v_lshrrev_b16 v43, 11, v21
	global_load_dwordx4 v[104:107], v[18:19], off offset:224
	v_cmp_lt_u32_e64 s1, 25, v67
	v_mul_lo_u16 v21, v43, 26
	v_sub_nc_u16 v44, v68, v21
	v_mov_b32_e32 v21, 12
	v_mul_u32_u24_sdwa v21, v44, v21 dst_sel:DWORD dst_unused:UNUSED_PAD src0_sel:BYTE_0 src1_sel:DWORD
	v_lshlrev_b32_e32 v21, 3, v21
	s_clause 0x8
	global_load_dwordx4 v[108:111], v21, s[8:9] offset:272
	global_load_dwordx4 v[112:115], v[18:19], off offset:272
	global_load_dwordx4 v[116:119], v21, s[8:9] offset:256
	global_load_dwordx4 v[120:123], v[18:19], off offset:256
	;; [unrolled: 2-line block ×3, first 2 shown]
	global_load_dwordx4 v[132:135], v21, s[8:9] offset:224
	global_load_dwordx4 v[136:139], v21, s[8:9] offset:208
	;; [unrolled: 1-line block ×3, first 2 shown]
	ds_read_b32 v21, v77
	ds_read_b32 v22, v78
	;; [unrolled: 1-line block ×7, first 2 shown]
	ds_read_b32 v41, v47 offset:5200
	ds_read2_b32 v[18:19], v57 offset0:172 offset1:224
	s_waitcnt vmcnt(11) lgkmcnt(8)
	v_mul_f32_e32 v101, v21, v85
	v_mul_f32_e32 v33, v39, v85
	s_waitcnt lgkmcnt(7)
	v_mul_f32_e32 v99, v22, v87
	s_waitcnt vmcnt(10)
	v_mul_f32_e32 v40, v36, v94
	s_waitcnt vmcnt(9) lgkmcnt(4)
	v_mul_f32_e32 v81, v30, v105
	v_fmac_f32_e32 v101, v39, v84
	v_mul_f32_e32 v39, v38, v87
	v_fma_f32 v103, v21, v84, -v33
	v_mul_f32_e32 v33, v31, v105
	v_mul_f32_e32 v91, v23, v94
	v_fma_f32 v94, v23, v93, -v40
	v_fma_f32 v100, v22, v86, -v39
	ds_read2_b32 v[21:22], v57 offset0:68 offset1:120
	v_mul_f32_e32 v23, v34, v96
	s_waitcnt lgkmcnt(4)
	v_mul_f32_e32 v58, v32, v107
	v_fmac_f32_e32 v81, v31, v104
	v_fma_f32 v82, v30, v104, -v33
	v_mul_f32_e32 v85, v28, v96
	v_fma_f32 v88, v28, v95, -v23
	v_mul_f32_e32 v23, v29, v107
	s_waitcnt vmcnt(8)
	v_mul_f32_e32 v30, v35, v111
	v_mul_f32_e32 v31, v16, v109
	v_fmac_f32_e32 v58, v29, v106
	s_waitcnt lgkmcnt(2)
	v_mul_f32_e32 v54, v41, v111
	ds_read2_b32 v[28:29], v61 offset0:92 offset1:144
	v_fma_f32 v52, v41, v110, -v30
	s_waitcnt lgkmcnt(2)
	v_fma_f32 v41, v18, v108, -v31
	ds_read2_b32 v[30:31], v55 offset0:116 offset1:168
	v_mul_f32_e32 v40, v18, v109
	v_fmac_f32_e32 v54, v35, v110
	s_waitcnt vmcnt(7)
	v_mul_f32_e32 v18, v15, v113
	v_mul_f32_e32 v104, v19, v115
	s_waitcnt lgkmcnt(2)
	v_mul_f32_e32 v102, v22, v113
	s_waitcnt vmcnt(6)
	v_mul_f32_e32 v35, v21, v119
	v_fmac_f32_e32 v40, v16, v108
	v_mul_f32_e32 v16, v17, v115
	v_fma_f32 v98, v22, v112, -v18
	v_fmac_f32_e32 v102, v15, v112
	v_fmac_f32_e32 v35, v14, v118
	v_mul_f32_e32 v18, v14, v119
	ds_read2_b32 v[14:15], v55 offset0:12 offset1:64
	v_fma_f32 v97, v19, v114, -v16
	v_mul_f32_e32 v19, v12, v117
	s_waitcnt vmcnt(5)
	v_mul_f32_e32 v22, v13, v123
	v_fmac_f32_e32 v85, v34, v95
	v_fmac_f32_e32 v104, v17, v114
	s_waitcnt lgkmcnt(2)
	v_mul_f32_e32 v95, v29, v123
	ds_read2_b32 v[16:17], v51 offset0:164 offset1:216
	v_fma_f32 v39, v21, v118, -v18
	v_fma_f32 v34, v28, v116, -v19
	;; [unrolled: 1-line block ×3, first 2 shown]
	s_waitcnt lgkmcnt(2)
	v_mul_f32_e32 v90, v31, v121
	v_mul_f32_e32 v18, v11, v121
	s_waitcnt vmcnt(4)
	v_mul_f32_e32 v29, v30, v127
	v_mul_f32_e32 v19, v10, v127
	;; [unrolled: 1-line block ×3, first 2 shown]
	v_fmac_f32_e32 v90, v11, v120
	v_fma_f32 v92, v31, v120, -v18
	v_fmac_f32_e32 v29, v10, v126
	v_fma_f32 v30, v30, v126, -v19
	v_mul_f32_e32 v18, v6, v125
	s_waitcnt vmcnt(3)
	v_mul_f32_e32 v19, v7, v131
	ds_read2_b32 v[10:11], v63 offset0:4 offset1:108
	v_fmac_f32_e32 v33, v12, v116
	v_fmac_f32_e32 v95, v13, v122
	s_waitcnt lgkmcnt(2)
	v_fma_f32 v22, v14, v124, -v18
	v_fma_f32 v89, v15, v130, -v19
	ds_read2_b32 v[18:19], v47 offset1:156
	ds_read2_b32 v[12:13], v79 offset0:84 offset1:188
	s_waitcnt lgkmcnt(3)
	v_mul_f32_e32 v66, v17, v129
	v_fma_f32 v60, v32, v106, -v23
	v_mul_f32_e32 v21, v14, v125
	s_waitcnt vmcnt(2)
	v_mul_f32_e32 v23, v16, v135
	v_mul_f32_e32 v84, v15, v131
	v_fmac_f32_e32 v66, v5, v128
	v_mul_f32_e32 v5, v5, v129
	v_fmac_f32_e32 v21, v6, v124
	;; [unrolled: 2-line block ×3, first 2 shown]
	s_waitcnt vmcnt(1)
	v_mul_f32_e32 v4, v8, v139
	v_fma_f32 v80, v17, v128, -v5
	v_mul_f32_e32 v5, v3, v137
	s_waitcnt lgkmcnt(2)
	v_mul_f32_e32 v48, v11, v137
	s_waitcnt vmcnt(0)
	v_mul_f32_e32 v56, v10, v143
	v_fmac_f32_e32 v99, v38, v86
	v_fmac_f32_e32 v91, v36, v93
	;; [unrolled: 1-line block ×4, first 2 shown]
	v_sub_f32_e32 v3, v103, v97
	s_waitcnt lgkmcnt(1)
	v_mul_f32_e32 v79, v19, v141
	v_mul_f32_e32 v7, v9, v133
	s_waitcnt lgkmcnt(0)
	v_mul_f32_e32 v36, v12, v139
	v_fma_f32 v38, v12, v138, -v4
	v_fma_f32 v50, v11, v136, -v5
	v_fmac_f32_e32 v56, v2, v142
	v_mul_f32_e32 v2, v2, v143
	v_mul_f32_e32 v4, v1, v141
	v_add_f32_e32 v5, v101, v104
	v_fmac_f32_e32 v79, v1, v140
	v_mul_f32_e32 v1, 0xbf52af12, v3
	v_mul_f32_e32 v31, v13, v133
	v_fma_f32 v28, v16, v134, -v6
	v_fma_f32 v32, v13, v132, -v7
	v_fmac_f32_e32 v36, v8, v138
	v_mul_f32_e32 v6, 0xbeedf032, v3
	v_fma_f32 v62, v10, v142, -v2
	v_fma_f32 v19, v19, v140, -v4
	v_mul_f32_e32 v4, 0xbf7e222b, v3
	v_fmamk_f32 v7, v5, 0x3f116cb1, v1
	v_fma_f32 v8, 0x3f116cb1, v5, -v1
	v_mul_f32_e32 v1, 0xbf6f5d39, v3
	v_mul_f32_e32 v10, 0xbf29c268, v3
	;; [unrolled: 1-line block ×3, first 2 shown]
	v_add_f32_e32 v14, v0, v101
	v_fmac_f32_e32 v31, v9, v132
	v_fmamk_f32 v2, v5, 0x3f62ad3f, v6
	v_fma_f32 v6, 0x3f62ad3f, v5, -v6
	v_fmamk_f32 v9, v5, 0x3df6dbef, v4
	v_fma_f32 v4, 0x3df6dbef, v5, -v4
	v_fmamk_f32 v11, v5, 0xbeb58ec6, v1
	v_fma_f32 v12, 0xbeb58ec6, v5, -v1
	v_fmamk_f32 v13, v5, 0xbf3f9e67, v10
	v_fma_f32 v10, 0xbf3f9e67, v5, -v10
	v_fmamk_f32 v15, v5, 0xbf788fa5, v3
	v_fma_f32 v3, 0xbf788fa5, v5, -v3
	v_add_f32_e32 v5, v14, v99
	v_add_f32_e32 v1, v0, v6
	v_sub_f32_e32 v6, v100, v98
	v_add_f32_e32 v14, v99, v102
	v_sub_f32_e32 v17, v94, v96
	v_add_f32_e32 v5, v5, v91
	v_add_f32_e32 v2, v0, v2
	v_mul_f32_e32 v16, 0xbf52af12, v6
	v_add_f32_e32 v64, v91, v95
	v_mul_f32_e32 v83, 0xbf7e222b, v17
	v_add_f32_e32 v5, v5, v85
	v_sub_f32_e32 v86, v88, v92
	v_fmamk_f32 v46, v14, 0x3f116cb1, v16
	v_add_f32_e32 v87, v85, v90
	v_sub_f32_e32 v105, v82, v89
	v_add_f32_e32 v5, v5, v81
	v_mul_f32_e32 v106, 0xbf6f5d39, v86
	v_add_f32_e32 v2, v46, v2
	v_fmamk_f32 v46, v64, 0x3df6dbef, v83
	v_add_f32_e32 v107, v81, v84
	v_add_f32_e32 v5, v5, v58
	v_mul_f32_e32 v108, 0xbf29c268, v105
	v_sub_f32_e32 v109, v60, v80
	v_add_f32_e32 v2, v46, v2
	v_fmamk_f32 v46, v87, 0xbeb58ec6, v106
	v_add_f32_e32 v5, v5, v66
	v_add_f32_e32 v7, v0, v7
	;; [unrolled: 1-line block ×11, first 2 shown]
	v_fmamk_f32 v46, v107, 0xbf3f9e67, v108
	v_add_f32_e32 v110, v58, v66
	v_mul_f32_e32 v111, 0xbe750f2a, v109
	v_add_f32_e32 v10, v0, v10
	v_add_f32_e32 v5, v5, v95
	;; [unrolled: 1-line block ×4, first 2 shown]
	v_lshlrev_b32_e32 v3, 2, v45
	v_cndmask_b32_e64 v45, 0, 0x548, s1
	v_add_f32_e32 v5, v5, v102
	v_mul_f32_e32 v112, 0xbf6f5d39, v6
	v_mul_f32_e32 v113, 0xbe750f2a, v6
	v_add_f32_e32 v2, v46, v2
	v_fmamk_f32 v46, v110, 0xbf788fa5, v111
	v_add3_u32 v93, 0, v45, v3
	v_add_f32_e32 v3, v5, v104
	v_fmamk_f32 v5, v14, 0xbeb58ec6, v112
	v_fmamk_f32 v45, v14, 0xbf788fa5, v113
	v_mul_f32_e32 v114, 0x3f6f5d39, v17
	v_add_f32_e32 v2, v46, v2
	v_mul_f32_e32 v46, 0xbe750f2a, v17
	v_add_f32_e32 v5, v5, v7
	v_add_f32_e32 v7, v45, v9
	v_fmamk_f32 v45, v64, 0xbeb58ec6, v114
	v_mul_f32_e32 v116, 0x3eedf032, v86
	v_fmamk_f32 v9, v64, 0xbf788fa5, v46
	v_mul_f32_e32 v115, 0x3f29c268, v86
	v_mul_f32_e32 v118, 0xbf52af12, v105
	v_add_f32_e32 v7, v45, v7
	v_fmamk_f32 v45, v87, 0x3f62ad3f, v116
	v_add_f32_e32 v5, v9, v5
	v_fmamk_f32 v9, v87, 0xbf3f9e67, v115
	v_mul_f32_e32 v117, 0x3f7e222b, v105
	v_mul_f32_e32 v121, 0x3f29c268, v6
	v_add_f32_e32 v7, v45, v7
	v_fmamk_f32 v45, v107, 0x3f116cb1, v118
	v_mul_f32_e32 v122, 0x3f7e222b, v6
	v_add_f32_e32 v5, v9, v5
	v_fmamk_f32 v9, v107, 0x3df6dbef, v117
	;; [unrolled: 3-line block ×3, first 2 shown]
	v_fmamk_f32 v123, v14, 0x3df6dbef, v122
	v_mul_f32_e32 v124, 0x3eedf032, v17
	v_mul_f32_e32 v125, 0xbf52af12, v17
	v_add_f32_e32 v5, v9, v5
	v_fmamk_f32 v9, v110, 0x3f62ad3f, v119
	v_add_f32_e32 v11, v45, v11
	v_add_f32_e32 v13, v123, v13
	v_fmamk_f32 v45, v64, 0x3f62ad3f, v124
	v_fmamk_f32 v123, v64, 0x3f116cb1, v125
	v_mul_f32_e32 v127, 0xbf7e222b, v86
	v_mul_f32_e32 v128, 0x3e750f2a, v86
	;; [unrolled: 1-line block ×3, first 2 shown]
	v_add_f32_e32 v5, v9, v5
	v_add_f32_e32 v9, v45, v11
	;; [unrolled: 1-line block ×3, first 2 shown]
	v_fmamk_f32 v13, v87, 0x3df6dbef, v127
	v_fmamk_f32 v45, v87, 0xbf788fa5, v128
	v_mul_f32_e32 v123, 0x3e750f2a, v105
	v_mul_f32_e32 v129, 0x3eedf032, v105
	v_fmamk_f32 v126, v110, 0xbf3f9e67, v120
	v_add_f32_e32 v9, v13, v9
	v_add_f32_e32 v11, v45, v11
	v_fmamk_f32 v13, v107, 0xbf788fa5, v123
	v_fmamk_f32 v45, v107, 0x3f62ad3f, v129
	v_mul_f32_e32 v6, 0x3eedf032, v6
	v_add_f32_e32 v7, v126, v7
	s_barrier
	buffer_gl0_inv
	ds_write2_b32 v93, v3, v2 offset1:26
	ds_write2_b32 v93, v5, v7 offset0:52 offset1:78
	v_add_f32_e32 v2, v13, v9
	v_add_f32_e32 v3, v45, v11
	v_fmamk_f32 v5, v14, 0x3f62ad3f, v6
	v_fma_f32 v6, 0x3f62ad3f, v14, -v6
	v_mul_f32_e32 v7, 0xbf29c268, v17
	v_mul_f32_e32 v9, 0x3f52af12, v109
	;; [unrolled: 1-line block ×3, first 2 shown]
	v_add_f32_e32 v5, v5, v15
	v_add_f32_e32 v0, v6, v0
	v_fmamk_f32 v6, v64, 0xbf3f9e67, v7
	v_fma_f32 v7, 0xbf3f9e67, v64, -v7
	v_mul_f32_e32 v13, 0x3f52af12, v86
	v_fmamk_f32 v15, v110, 0x3f116cb1, v9
	v_fmamk_f32 v17, v110, 0xbeb58ec6, v11
	v_add_f32_e32 v5, v6, v5
	v_add_f32_e32 v0, v7, v0
	v_fmamk_f32 v6, v87, 0x3f116cb1, v13
	v_fma_f32 v7, 0x3f116cb1, v87, -v13
	v_mul_f32_e32 v13, 0xbf6f5d39, v105
	v_add_f32_e32 v2, v15, v2
	v_add_f32_e32 v3, v17, v3
	;; [unrolled: 1-line block ×4, first 2 shown]
	v_fmamk_f32 v6, v107, 0xbeb58ec6, v13
	v_fma_f32 v7, 0xbeb58ec6, v107, -v13
	ds_write2_b32 v93, v2, v3 offset0:104 offset1:130
	v_mul_f32_e32 v2, 0x3f7e222b, v109
	v_fma_f32 v3, 0xbf3f9e67, v14, -v121
	v_add_f32_e32 v5, v6, v5
	v_add_f32_e32 v0, v7, v0
	v_fma_f32 v6, 0x3df6dbef, v14, -v122
	v_fmamk_f32 v7, v110, 0x3df6dbef, v2
	v_add_f32_e32 v3, v3, v12
	v_fma_f32 v12, 0x3f62ad3f, v64, -v124
	v_fma_f32 v2, 0x3df6dbef, v110, -v2
	v_add_f32_e32 v6, v6, v10
	v_fma_f32 v10, 0x3f116cb1, v64, -v125
	v_add_f32_e32 v5, v7, v5
	v_add_f32_e32 v3, v12, v3
	v_fma_f32 v7, 0x3df6dbef, v87, -v127
	v_add_f32_e32 v0, v2, v0
	v_add_f32_e32 v2, v10, v6
	v_fma_f32 v6, 0xbeb58ec6, v14, -v112
	v_fma_f32 v10, 0xbf788fa5, v14, -v113
	v_add_f32_e32 v3, v7, v3
	v_fma_f32 v7, 0xbf788fa5, v87, -v128
	v_fma_f32 v12, 0xbf788fa5, v107, -v123
	v_add_f32_e32 v6, v6, v8
	v_add_f32_e32 v4, v10, v4
	v_fma_f32 v8, 0xbf788fa5, v64, -v46
	v_fma_f32 v10, 0xbeb58ec6, v64, -v114
	v_add_f32_e32 v2, v7, v2
	v_fma_f32 v7, 0x3f62ad3f, v107, -v129
	v_add_f32_e32 v3, v12, v3
	v_add_f32_e32 v6, v8, v6
	;; [unrolled: 1-line block ×3, first 2 shown]
	v_fma_f32 v8, 0xbf3f9e67, v87, -v115
	v_fma_f32 v10, 0x3f62ad3f, v87, -v116
	v_add_f32_e32 v2, v7, v2
	v_fma_f32 v7, 0x3f116cb1, v110, -v9
	v_fma_f32 v9, 0xbeb58ec6, v110, -v11
	v_add_f32_e32 v6, v8, v6
	v_add_f32_e32 v4, v10, v4
	v_fma_f32 v8, 0x3df6dbef, v107, -v117
	v_fma_f32 v10, 0x3f116cb1, v107, -v118
	ds_write2_b32 v93, v5, v0 offset0:156 offset1:182
	v_add_f32_e32 v0, v7, v3
	v_add_f32_e32 v2, v9, v2
	;; [unrolled: 1-line block ×4, first 2 shown]
	v_fma_f32 v5, 0x3f62ad3f, v110, -v119
	v_fma_f32 v6, 0xbf3f9e67, v110, -v120
	ds_write2_b32 v93, v2, v0 offset0:208 offset1:234
	v_sub_f32_e32 v0, v19, v52
	v_fma_f32 v2, 0x3f116cb1, v14, -v16
	v_add_f32_e32 v3, v5, v3
	v_add_f32_e32 v4, v6, v4
	;; [unrolled: 1-line block ×3, first 2 shown]
	v_mul_f32_e32 v6, 0xbeedf032, v0
	v_add_f32_e32 v1, v2, v1
	v_sub_f32_e32 v2, v62, v41
	v_fma_f32 v7, 0x3df6dbef, v64, -v83
	v_add_nc_u32_e32 v105, 0x400, v93
	v_fmamk_f32 v8, v5, 0x3f62ad3f, v6
	v_add_f32_e32 v9, v56, v40
	v_mul_f32_e32 v10, 0xbf52af12, v2
	v_add_f32_e32 v1, v7, v1
	v_sub_f32_e32 v7, v50, v39
	v_fma_f32 v11, 0xbeb58ec6, v87, -v106
	v_add_f32_e32 v8, v20, v8
	v_fmamk_f32 v12, v9, 0x3f116cb1, v10
	v_add_f32_e32 v13, v48, v35
	v_mul_f32_e32 v14, 0xbf7e222b, v7
	ds_write2_b32 v105, v4, v3 offset0:4 offset1:30
	v_sub_f32_e32 v3, v38, v34
	v_add_f32_e32 v1, v11, v1
	v_add_f32_e32 v4, v12, v8
	v_fmamk_f32 v8, v13, 0x3df6dbef, v14
	v_add_f32_e32 v11, v36, v33
	v_mul_f32_e32 v12, 0xbf6f5d39, v3
	v_add_f32_e32 v16, v20, v79
	v_sub_f32_e32 v17, v32, v30
	v_fma_f32 v15, 0xbf3f9e67, v107, -v108
	v_add_f32_e32 v4, v8, v4
	v_fmamk_f32 v8, v11, 0xbeb58ec6, v12
	v_add_f32_e32 v45, v31, v29
	v_add_f32_e32 v16, v16, v56
	v_mul_f32_e32 v46, 0xbf29c268, v17
	v_add_f32_e32 v1, v15, v1
	v_add_f32_e32 v4, v8, v4
	v_sub_f32_e32 v8, v28, v22
	v_add_f32_e32 v15, v16, v48
	v_fmamk_f32 v16, v45, 0xbf3f9e67, v46
	v_add_f32_e32 v83, v23, v21
	v_mov_b32_e32 v87, 2
	v_mul_f32_e32 v86, 0xbe750f2a, v8
	v_add_f32_e32 v15, v15, v36
	v_add_f32_e32 v4, v16, v4
	v_mov_b32_e32 v16, 0x548
	v_fma_f32 v64, 0xbf788fa5, v110, -v111
	v_fmamk_f32 v106, v83, 0xbf788fa5, v86
	v_add_f32_e32 v15, v15, v31
	v_mul_f32_e32 v109, 0xbe750f2a, v7
	v_mul_u32_u24_sdwa v16, v43, v16 dst_sel:DWORD dst_unused:UNUSED_PAD src0_sel:WORD_0 src1_sel:DWORD
	v_lshlrev_b32_sdwa v43, v87, v44 dst_sel:DWORD dst_unused:UNUSED_PAD src0_sel:DWORD src1_sel:BYTE_0
	v_mul_f32_e32 v44, 0xbf52af12, v0
	v_add_f32_e32 v1, v64, v1
	v_add_f32_e32 v4, v106, v4
	;; [unrolled: 1-line block ×3, first 2 shown]
	v_add3_u32 v106, 0, v16, v43
	v_fmamk_f32 v16, v5, 0x3f116cb1, v44
	v_mul_f32_e32 v43, 0xbf6f5d39, v2
	ds_write_b32 v93, v1 offset:1248
	v_mul_f32_e32 v1, 0xbf7e222b, v0
	v_add_f32_e32 v15, v15, v21
	v_add_f32_e32 v16, v20, v16
	v_fmamk_f32 v107, v9, 0xbeb58ec6, v43
	v_mul_f32_e32 v87, 0xbe750f2a, v2
	v_fmamk_f32 v64, v5, 0x3df6dbef, v1
	v_add_f32_e32 v15, v15, v29
	v_mul_f32_e32 v111, 0x3f29c268, v3
	v_add_f32_e32 v16, v107, v16
	v_fmamk_f32 v107, v13, 0xbf788fa5, v109
	v_add_f32_e32 v64, v20, v64
	v_fmamk_f32 v108, v9, 0xbf788fa5, v87
	v_mul_f32_e32 v110, 0x3f6f5d39, v7
	v_add_f32_e32 v15, v15, v33
	v_add_f32_e32 v16, v107, v16
	v_fmamk_f32 v107, v11, 0xbf3f9e67, v111
	v_mul_f32_e32 v113, 0x3f7e222b, v17
	v_add_f32_e32 v64, v108, v64
	v_fmamk_f32 v108, v13, 0xbeb58ec6, v110
	v_mul_f32_e32 v112, 0x3eedf032, v3
	v_add_f32_e32 v15, v15, v35
	v_add_f32_e32 v16, v107, v16
	v_fmamk_f32 v107, v45, 0x3df6dbef, v113
	v_mul_f32_e32 v117, 0xbf6f5d39, v0
	v_add_f32_e32 v64, v108, v64
	v_fmamk_f32 v108, v11, 0x3f62ad3f, v112
	v_mul_f32_e32 v114, 0xbf52af12, v17
	v_add_f32_e32 v15, v15, v40
	v_add_f32_e32 v16, v107, v16
	v_mul_f32_e32 v107, 0xbf29c268, v0
	v_fmamk_f32 v118, v5, 0xbeb58ec6, v117
	v_mul_f32_e32 v119, 0x3f29c268, v2
	v_add_f32_e32 v64, v108, v64
	v_fmamk_f32 v108, v45, 0x3f116cb1, v114
	v_mul_f32_e32 v115, 0x3eedf032, v8
	v_mul_f32_e32 v116, 0xbf29c268, v8
	v_add_f32_e32 v15, v15, v54
	v_fmamk_f32 v121, v5, 0xbf3f9e67, v107
	v_mul_f32_e32 v122, 0x3f7e222b, v2
	v_add_f32_e32 v118, v20, v118
	v_fmamk_f32 v123, v9, 0xbf3f9e67, v119
	;; [unrolled: 3-line block ×3, first 2 shown]
	v_fmamk_f32 v120, v83, 0xbf3f9e67, v116
	ds_write2_b32 v106, v15, v4 offset1:26
	v_add_f32_e32 v4, v20, v121
	v_fmamk_f32 v15, v9, 0x3df6dbef, v122
	v_add_f32_e32 v118, v123, v118
	v_fmamk_f32 v121, v13, 0x3f62ad3f, v124
	v_mul_f32_e32 v123, 0xbf52af12, v7
	v_add_f32_e32 v16, v108, v16
	v_add_f32_e32 v4, v15, v4
	;; [unrolled: 1-line block ×4, first 2 shown]
	v_fmamk_f32 v108, v13, 0x3f116cb1, v123
	v_mul_f32_e32 v121, 0x3e750f2a, v3
	v_mul_f32_e32 v0, 0xbe750f2a, v0
	ds_write2_b32 v106, v16, v64 offset0:52 offset1:78
	v_mul_f32_e32 v2, 0x3eedf032, v2
	v_add_f32_e32 v4, v108, v4
	v_fmamk_f32 v108, v11, 0xbf788fa5, v121
	v_fmamk_f32 v64, v5, 0xbf788fa5, v0
	v_fma_f32 v0, 0xbf788fa5, v5, -v0
	v_mul_f32_e32 v125, 0xbf7e222b, v3
	v_mul_f32_e32 v7, 0xbf29c268, v7
	v_add_f32_e32 v4, v108, v4
	v_add_f32_e32 v64, v20, v64
	v_fmamk_f32 v108, v9, 0x3f62ad3f, v2
	v_add_f32_e32 v0, v20, v0
	v_fma_f32 v2, 0x3f62ad3f, v9, -v2
	v_fmamk_f32 v118, v11, 0x3df6dbef, v125
	v_mul_f32_e32 v3, 0x3f52af12, v3
	v_add_f32_e32 v64, v108, v64
	v_mul_f32_e32 v120, 0x3e750f2a, v17
	v_add_f32_e32 v0, v2, v0
	v_fmamk_f32 v2, v13, 0xbf3f9e67, v7
	v_fma_f32 v7, 0xbf3f9e67, v13, -v7
	v_add_f32_e32 v15, v118, v15
	v_mul_f32_e32 v118, 0x3eedf032, v17
	v_mul_f32_e32 v17, 0xbf6f5d39, v17
	v_add_f32_e32 v2, v2, v64
	v_add_f32_e32 v0, v7, v0
	v_fmamk_f32 v7, v11, 0x3f116cb1, v3
	v_fma_f32 v3, 0x3f116cb1, v11, -v3
	v_fma_f32 v64, 0xbeb58ec6, v5, -v117
	v_fmamk_f32 v16, v45, 0x3f62ad3f, v118
	v_fma_f32 v1, 0x3df6dbef, v5, -v1
	v_add_f32_e32 v2, v7, v2
	v_fmamk_f32 v7, v45, 0xbeb58ec6, v17
	v_add_f32_e32 v0, v3, v0
	v_fma_f32 v3, 0xbf3f9e67, v5, -v107
	v_add_f32_e32 v64, v20, v64
	v_fma_f32 v107, 0xbf3f9e67, v9, -v119
	;; [unrolled: 2-line block ×4, first 2 shown]
	v_add_f32_e32 v4, v16, v4
	v_mul_f32_e32 v16, 0x3f52af12, v8
	v_add_f32_e32 v0, v7, v0
	v_fma_f32 v7, 0x3f116cb1, v13, -v123
	v_add_f32_e32 v3, v17, v3
	v_mul_f32_e32 v127, 0xbf6f5d39, v8
	v_add_f32_e32 v64, v107, v64
	v_fma_f32 v107, 0x3f62ad3f, v13, -v124
	v_mul_f32_e32 v8, 0x3f7e222b, v8
	v_add_f32_e32 v3, v7, v3
	v_fma_f32 v7, 0xbf788fa5, v11, -v121
	v_add_f32_e32 v1, v20, v1
	v_add_f32_e32 v17, v107, v64
	v_fmamk_f32 v64, v83, 0x3df6dbef, v8
	v_fma_f32 v107, 0x3df6dbef, v11, -v125
	v_add_f32_e32 v3, v7, v3
	v_fma_f32 v7, 0x3f116cb1, v5, -v44
	v_fma_f32 v5, 0x3f62ad3f, v5, -v6
	v_fma_f32 v8, 0x3df6dbef, v83, -v8
	v_add_f32_e32 v2, v64, v2
	v_add_f32_e32 v17, v107, v17
	v_add_f32_e32 v6, v20, v7
	v_fma_f32 v7, 0xbeb58ec6, v9, -v43
	v_fma_f32 v43, 0xbf788fa5, v9, -v87
	v_add_f32_e32 v5, v20, v5
	v_fma_f32 v9, 0x3f116cb1, v9, -v10
	v_fma_f32 v10, 0xbeb58ec6, v13, -v110
	v_add_f32_e32 v6, v7, v6
	v_add_f32_e32 v1, v43, v1
	v_fma_f32 v7, 0xbf788fa5, v13, -v109
	v_add_f32_e32 v5, v9, v5
	v_fma_f32 v9, 0x3df6dbef, v13, -v14
	v_fma_f32 v64, 0xbf788fa5, v45, -v120
	v_add_f32_e32 v1, v10, v1
	v_add_f32_e32 v6, v7, v6
	v_fma_f32 v7, 0xbf3f9e67, v11, -v111
	v_fma_f32 v10, 0x3f62ad3f, v11, -v112
	v_add_f32_e32 v5, v9, v5
	v_fma_f32 v9, 0xbeb58ec6, v11, -v12
	v_fmamk_f32 v126, v45, 0xbf788fa5, v120
	v_add_f32_e32 v0, v8, v0
	v_add_f32_e32 v8, v64, v17
	v_fma_f32 v17, 0x3f62ad3f, v45, -v118
	v_add_f32_e32 v6, v7, v6
	v_add_f32_e32 v1, v10, v1
	v_fma_f32 v7, 0x3df6dbef, v45, -v113
	v_fma_f32 v10, 0x3f116cb1, v45, -v114
	v_add_f32_e32 v5, v9, v5
	v_fma_f32 v9, 0xbf3f9e67, v45, -v46
	v_add_f32_e32 v15, v126, v15
	v_fmamk_f32 v126, v83, 0x3f116cb1, v16
	v_fmamk_f32 v108, v83, 0xbeb58ec6, v127
	v_add_f32_e32 v3, v17, v3
	v_fma_f32 v16, 0x3f116cb1, v83, -v16
	v_fma_f32 v11, 0xbeb58ec6, v83, -v127
	v_add_f32_e32 v6, v7, v6
	v_add_f32_e32 v1, v10, v1
	v_fma_f32 v7, 0x3f62ad3f, v83, -v115
	v_fma_f32 v10, 0xbf3f9e67, v83, -v116
	v_add_f32_e32 v5, v9, v5
	v_fma_f32 v9, 0xbf788fa5, v83, -v86
	v_add_f32_e32 v15, v126, v15
	v_add_f32_e32 v4, v108, v4
	;; [unrolled: 1-line block ×6, first 2 shown]
	v_add_nc_u32_e32 v20, 0x400, v106
	v_lshl_add_u32 v108, v70, 2, 0
	v_add_f32_e32 v44, v9, v5
	ds_write2_b32 v106, v15, v4 offset0:104 offset1:130
	ds_write2_b32 v106, v2, v0 offset0:156 offset1:182
	;; [unrolled: 1-line block ×4, first 2 shown]
	ds_write_b32 v106, v44 offset:1248
	s_waitcnt lgkmcnt(0)
	s_barrier
	buffer_gl0_inv
	v_lshl_add_u32 v107, v72, 2, 0
	ds_read_b32 v83, v78
	ds_read_b32 v87, v47
	;; [unrolled: 1-line block ×6, first 2 shown]
	ds_read2_b32 v[2:3], v63 offset0:82 offset1:134
	ds_read2_b32 v[0:1], v51 offset0:164 offset1:216
	;; [unrolled: 1-line block ×9, first 2 shown]
	v_sub_nc_u32_e32 v45, 0, v75
	v_sub_nc_u32_e32 v75, 0, v74
	;; [unrolled: 1-line block ×3, first 2 shown]
                                        ; implicit-def: $vgpr46
	v_add_nc_u32_e32 v65, v65, v45
                                        ; implicit-def: $vgpr45
	s_and_saveexec_b32 s1, s0
	s_cbranch_execz .LBB0_15
; %bb.14:
	ds_read_b32 v44, v47 offset:2600
	ds_read_b32 v45, v47 offset:3952
	ds_read_b32 v43, v65
	ds_read_b32 v46, v47 offset:5304
.LBB0_15:
	s_or_b32 exec_lo, exec_lo, s1
	v_add_f32_e32 v76, v18, v103
	v_add_f32_e32 v103, v103, v97
	v_sub_f32_e32 v101, v101, v104
	v_add_f32_e32 v104, v100, v98
	v_sub_f32_e32 v99, v99, v102
	v_add_f32_e32 v76, v76, v100
	v_mul_f32_e32 v102, 0x3f116cb1, v103
	v_mul_f32_e32 v100, 0x3f62ad3f, v103
	;; [unrolled: 1-line block ×4, first 2 shown]
	v_add_f32_e32 v76, v76, v94
	v_fmamk_f32 v117, v101, 0x3f52af12, v102
	v_fmac_f32_e32 v102, 0xbf52af12, v101
	v_mul_f32_e32 v110, 0xbeb58ec6, v103
	v_mul_f32_e32 v111, 0xbf3f9e67, v103
	v_add_f32_e32 v76, v76, v88
	v_mul_f32_e32 v103, 0xbf788fa5, v103
	v_fmamk_f32 v122, v99, 0x3f6f5d39, v113
	v_fmac_f32_e32 v113, 0xbf6f5d39, v99
	v_add_f32_e32 v102, v18, v102
	v_add_f32_e32 v76, v76, v82
	v_mul_f32_e32 v112, 0x3f116cb1, v104
	v_mul_f32_e32 v114, 0xbf788fa5, v104
	v_fmamk_f32 v116, v101, 0x3eedf032, v100
	v_fmac_f32_e32 v100, 0xbeedf032, v101
	v_add_f32_e32 v76, v76, v60
	v_fmamk_f32 v118, v101, 0x3f7e222b, v109
	v_fmac_f32_e32 v109, 0xbf7e222b, v101
	v_fmamk_f32 v119, v101, 0x3f6f5d39, v110
	v_fmac_f32_e32 v110, 0xbf6f5d39, v101
	v_add_f32_e32 v76, v76, v80
	v_fmamk_f32 v120, v101, 0x3f29c268, v111
	v_fmac_f32_e32 v111, 0xbf29c268, v101
	v_fmamk_f32 v121, v101, 0x3e750f2a, v103
	v_fmac_f32_e32 v103, 0xbe750f2a, v101
	v_add_f32_e32 v76, v76, v89
	v_add_f32_e32 v102, v113, v102
	v_mul_f32_e32 v113, 0x3df6dbef, v104
	v_add_f32_e32 v94, v94, v96
	v_mul_f32_e32 v115, 0xbf3f9e67, v104
	v_add_f32_e32 v76, v76, v92
	v_fmamk_f32 v101, v99, 0x3f52af12, v112
	v_fmac_f32_e32 v112, 0xbf52af12, v99
	v_add_f32_e32 v116, v18, v116
	v_add_f32_e32 v100, v18, v100
	;; [unrolled: 1-line block ×14, first 2 shown]
	v_fmamk_f32 v97, v99, 0x3e750f2a, v114
	v_fmac_f32_e32 v114, 0xbe750f2a, v99
	v_fmamk_f32 v96, v99, 0xbf7e222b, v113
	v_mul_f32_e32 v104, 0x3f62ad3f, v104
	v_fmac_f32_e32 v113, 0x3f7e222b, v99
	v_sub_f32_e32 v91, v91, v95
	v_mul_f32_e32 v95, 0x3df6dbef, v94
	v_add_f32_e32 v101, v101, v116
	v_add_f32_e32 v100, v112, v100
	v_fmamk_f32 v112, v99, 0xbf29c268, v115
	v_fmac_f32_e32 v115, 0x3f29c268, v99
	v_add_f32_e32 v109, v114, v109
	v_fmamk_f32 v114, v99, 0xbeedf032, v104
	v_fmac_f32_e32 v104, 0x3eedf032, v99
	v_add_f32_e32 v99, v113, v111
	v_fmamk_f32 v111, v91, 0x3f7e222b, v95
	v_mul_f32_e32 v113, 0xbf788fa5, v94
	v_add_f32_e32 v76, v122, v117
	v_add_f32_e32 v103, v104, v103
	;; [unrolled: 1-line block ×4, first 2 shown]
	v_fmamk_f32 v104, v91, 0x3e750f2a, v113
	v_mul_f32_e32 v111, 0xbeb58ec6, v94
	v_fmac_f32_e32 v95, 0xbf7e222b, v91
	v_add_f32_e32 v88, v88, v92
	v_add_f32_e32 v96, v96, v120
	;; [unrolled: 1-line block ×3, first 2 shown]
	v_fmamk_f32 v104, v91, 0xbf6f5d39, v111
	v_fmac_f32_e32 v113, 0xbe750f2a, v91
	v_add_f32_e32 v95, v95, v100
	v_mul_f32_e32 v100, 0x3f62ad3f, v94
	v_sub_f32_e32 v85, v85, v90
	v_add_f32_e32 v97, v104, v97
	v_mul_f32_e32 v104, 0x3f116cb1, v94
	v_mul_f32_e32 v94, 0xbf3f9e67, v94
	;; [unrolled: 1-line block ×3, first 2 shown]
	v_add_f32_e32 v98, v114, v98
	v_add_f32_e32 v102, v113, v102
	v_fmamk_f32 v92, v91, 0x3f52af12, v104
	v_fmac_f32_e32 v104, 0xbf52af12, v91
	v_fmac_f32_e32 v111, 0x3f6f5d39, v91
	v_fmamk_f32 v113, v91, 0xbeedf032, v100
	v_fmac_f32_e32 v100, 0x3eedf032, v91
	v_add_f32_e32 v92, v92, v96
	v_fmamk_f32 v96, v91, 0x3f29c268, v94
	v_fmac_f32_e32 v94, 0xbf29c268, v91
	v_add_f32_e32 v91, v104, v99
	v_fmamk_f32 v99, v85, 0x3f6f5d39, v90
	v_mul_f32_e32 v104, 0xbf3f9e67, v88
	v_fmac_f32_e32 v90, 0xbf6f5d39, v85
	v_add_f32_e32 v112, v112, v119
	v_add_f32_e32 v96, v96, v98
	;; [unrolled: 1-line block ×3, first 2 shown]
	v_fmamk_f32 v99, v85, 0xbf29c268, v104
	v_fmac_f32_e32 v104, 0x3f29c268, v85
	v_mul_f32_e32 v101, 0x3f62ad3f, v88
	v_add_f32_e32 v90, v90, v95
	v_mul_f32_e32 v95, 0x3df6dbef, v88
	v_add_f32_e32 v109, v111, v109
	v_add_f32_e32 v111, v113, v112
	;; [unrolled: 1-line block ×5, first 2 shown]
	v_fmamk_f32 v102, v85, 0xbeedf032, v101
	v_fmamk_f32 v103, v85, 0x3f7e222b, v95
	v_mul_f32_e32 v104, 0xbf788fa5, v88
	v_add_f32_e32 v82, v82, v89
	v_mul_f32_e32 v88, 0x3f116cb1, v88
	v_add_f32_e32 v97, v102, v97
	v_add_f32_e32 v102, v103, v111
	v_fmamk_f32 v103, v85, 0xbe750f2a, v104
	v_add_f32_e32 v110, v115, v110
	v_fmac_f32_e32 v101, 0x3eedf032, v85
	v_fmac_f32_e32 v95, 0xbf7e222b, v85
	;; [unrolled: 1-line block ×3, first 2 shown]
	v_add_f32_e32 v89, v103, v92
	v_sub_f32_e32 v81, v81, v84
	v_fmamk_f32 v92, v85, 0xbf52af12, v88
	v_fmac_f32_e32 v88, 0x3f52af12, v85
	v_mul_f32_e32 v85, 0x3df6dbef, v82
	v_add_f32_e32 v100, v100, v110
	v_mul_f32_e32 v84, 0xbf3f9e67, v82
	v_add_f32_e32 v92, v92, v96
	v_add_f32_e32 v88, v88, v94
	v_fmamk_f32 v94, v81, 0xbf7e222b, v85
	v_add_f32_e32 v95, v95, v100
	v_fmamk_f32 v100, v81, 0x3f29c268, v84
	v_sub_f32_e32 v58, v58, v66
	v_fmac_f32_e32 v84, 0xbf29c268, v81
	v_add_f32_e32 v76, v94, v76
	v_mul_f32_e32 v94, 0xbf788fa5, v82
	v_add_f32_e32 v96, v100, v98
	v_mul_f32_e32 v98, 0x3f62ad3f, v82
	;; [unrolled: 2-line block ×3, first 2 shown]
	v_fmamk_f32 v100, v81, 0xbe750f2a, v94
	v_fmac_f32_e32 v94, 0x3e750f2a, v81
	v_add_f32_e32 v91, v104, v91
	v_fmac_f32_e32 v85, 0x3f7e222b, v81
	v_add_f32_e32 v84, v84, v90
	v_mul_f32_e32 v90, 0x3f116cb1, v82
	v_add_f32_e32 v94, v94, v95
	v_add_f32_e32 v95, v37, v19
	v_fmamk_f32 v103, v81, 0xbeedf032, v98
	v_fmac_f32_e32 v98, 0x3eedf032, v81
	v_mul_f32_e32 v82, 0xbf788fa5, v60
	v_add_f32_e32 v85, v85, v99
	v_add_f32_e32 v66, v95, v62
	v_fmamk_f32 v95, v81, 0x3f6f5d39, v80
	v_fmac_f32_e32 v80, 0xbf6f5d39, v81
	v_fmamk_f32 v99, v81, 0x3f52af12, v90
	v_fmac_f32_e32 v90, 0xbf52af12, v81
	v_add_f32_e32 v66, v66, v50
	v_add_f32_e32 v81, v98, v91
	v_fmamk_f32 v91, v58, 0x3e750f2a, v82
	v_add_f32_e32 v80, v80, v88
	v_mul_f32_e32 v88, 0x3f62ad3f, v60
	v_add_f32_e32 v66, v66, v38
	v_add_f32_e32 v92, v95, v92
	;; [unrolled: 1-line block ×3, first 2 shown]
	v_fmac_f32_e32 v82, 0xbe750f2a, v58
	v_mul_f32_e32 v95, 0xbf3f9e67, v60
	v_add_f32_e32 v66, v66, v32
	v_fmamk_f32 v96, v58, 0xbeedf032, v88
	v_fmac_f32_e32 v88, 0x3eedf032, v58
	v_add_f32_e32 v97, v99, v97
	v_add_f32_e32 v82, v82, v84
	;; [unrolled: 1-line block ×3, first 2 shown]
	v_fmamk_f32 v84, v58, 0x3f29c268, v95
	v_add_f32_e32 v85, v88, v85
	v_mul_f32_e32 v88, 0x3f116cb1, v60
	v_add_f32_e32 v101, v101, v109
	v_add_f32_e32 v66, v66, v22
	;; [unrolled: 1-line block ×4, first 2 shown]
	v_mul_f32_e32 v96, 0xbeb58ec6, v60
	v_fmamk_f32 v97, v58, 0xbf52af12, v88
	v_add_f32_e32 v66, v66, v30
	v_fmac_f32_e32 v88, 0x3f52af12, v58
	v_mul_f32_e32 v60, 0x3df6dbef, v60
	v_add_f32_e32 v19, v19, v52
	v_add_f32_e32 v90, v90, v101
	;; [unrolled: 1-line block ×4, first 2 shown]
	v_fmac_f32_e32 v95, 0xbf29c268, v58
	v_add_f32_e32 v88, v88, v94
	v_fmamk_f32 v94, v58, 0xbf7e222b, v60
	v_add_f32_e32 v66, v66, v39
	v_sub_f32_e32 v54, v79, v54
	v_mul_f32_e32 v79, 0x3f62ad3f, v19
	v_add_f32_e32 v89, v103, v89
	v_add_f32_e32 v90, v95, v90
	v_fmamk_f32 v95, v58, 0x3f6f5d39, v96
	v_add_f32_e32 v97, v97, v99
	v_fmac_f32_e32 v96, 0xbf6f5d39, v58
	v_fmac_f32_e32 v60, 0x3f7e222b, v58
	v_add_f32_e32 v58, v66, v41
	v_add_f32_e32 v66, v94, v92
	v_fmamk_f32 v92, v54, 0x3eedf032, v79
	v_mul_f32_e32 v99, 0xbf3f9e67, v19
	v_add_f32_e32 v41, v62, v41
	v_add_f32_e32 v89, v95, v89
	v_mul_f32_e32 v94, 0x3f116cb1, v19
	v_add_f32_e32 v52, v58, v52
	v_add_f32_e32 v58, v37, v92
	v_mul_f32_e32 v92, 0x3df6dbef, v19
	v_mul_f32_e32 v95, 0xbeb58ec6, v19
	v_fmamk_f32 v62, v54, 0x3f29c268, v99
	v_mul_f32_e32 v19, 0xbf788fa5, v19
	v_fmac_f32_e32 v99, 0xbf29c268, v54
	v_sub_f32_e32 v40, v56, v40
	v_mul_f32_e32 v56, 0x3f116cb1, v41
	v_add_f32_e32 v81, v96, v81
	v_add_f32_e32 v60, v60, v80
	v_fmac_f32_e32 v79, 0xbeedf032, v54
	v_fmamk_f32 v80, v54, 0x3f52af12, v94
	v_fmac_f32_e32 v94, 0xbf52af12, v54
	v_fmamk_f32 v96, v54, 0x3f7e222b, v92
	;; [unrolled: 2-line block ×4, first 2 shown]
	v_fmac_f32_e32 v19, 0xbe750f2a, v54
	v_add_f32_e32 v54, v37, v99
	v_fmamk_f32 v99, v40, 0x3f52af12, v56
	v_mul_f32_e32 v101, 0xbeb58ec6, v41
	v_add_f32_e32 v79, v37, v79
	v_add_f32_e32 v80, v37, v80
	;; [unrolled: 1-line block ×11, first 2 shown]
	v_fmamk_f32 v58, v40, 0x3f6f5d39, v101
	v_mul_f32_e32 v99, 0xbf788fa5, v41
	v_fmac_f32_e32 v56, 0xbf52af12, v40
	v_fmac_f32_e32 v101, 0xbf6f5d39, v40
	v_add_f32_e32 v39, v50, v39
	v_add_f32_e32 v58, v58, v80
	v_fmamk_f32 v80, v40, 0x3e750f2a, v99
	v_add_f32_e32 v56, v56, v79
	v_mul_f32_e32 v79, 0xbf3f9e67, v41
	v_add_f32_e32 v94, v101, v94
	v_sub_f32_e32 v35, v48, v35
	v_add_f32_e32 v80, v80, v96
	v_mul_f32_e32 v96, 0x3df6dbef, v41
	v_fmamk_f32 v101, v40, 0xbf29c268, v79
	v_fmac_f32_e32 v79, 0x3f29c268, v40
	v_mul_f32_e32 v41, 0x3f62ad3f, v41
	v_mul_f32_e32 v48, 0x3df6dbef, v39
	v_fmamk_f32 v50, v40, 0xbf7e222b, v96
	v_fmac_f32_e32 v96, 0x3f7e222b, v40
	v_fmac_f32_e32 v99, 0xbe750f2a, v40
	v_add_f32_e32 v79, v79, v95
	v_mul_f32_e32 v95, 0xbf788fa5, v39
	v_add_f32_e32 v50, v50, v62
	v_fmamk_f32 v62, v40, 0xbeedf032, v41
	v_fmac_f32_e32 v41, 0x3eedf032, v40
	v_add_f32_e32 v40, v96, v54
	v_fmamk_f32 v54, v35, 0x3f7e222b, v48
	v_fmac_f32_e32 v48, 0xbf7e222b, v35
	v_add_f32_e32 v34, v38, v34
	v_add_f32_e32 v19, v41, v19
	v_fmamk_f32 v41, v35, 0x3e750f2a, v95
	v_add_f32_e32 v37, v54, v37
	v_mul_f32_e32 v54, 0xbeb58ec6, v39
	v_fmac_f32_e32 v95, 0xbe750f2a, v35
	v_add_f32_e32 v48, v48, v56
	v_add_f32_e32 v41, v41, v58
	v_mul_f32_e32 v56, 0x3f62ad3f, v39
	v_fmamk_f32 v58, v35, 0xbf6f5d39, v54
	v_add_f32_e32 v94, v95, v94
	v_sub_f32_e32 v33, v36, v33
	v_mul_f32_e32 v36, 0xbeb58ec6, v34
	v_fmamk_f32 v95, v35, 0xbeedf032, v56
	v_add_f32_e32 v58, v58, v80
	v_mul_f32_e32 v80, 0x3f116cb1, v39
	v_fmac_f32_e32 v56, 0x3eedf032, v35
	v_mul_f32_e32 v39, 0xbf3f9e67, v39
	v_fmac_f32_e32 v54, 0x3f6f5d39, v35
	v_add_f32_e32 v62, v62, v100
	v_fmamk_f32 v38, v35, 0x3f52af12, v80
	v_fmac_f32_e32 v80, 0xbf52af12, v35
	v_add_f32_e32 v56, v56, v79
	v_mul_f32_e32 v79, 0xbf3f9e67, v34
	v_add_f32_e32 v30, v32, v30
	v_add_f32_e32 v38, v38, v50
	v_fmamk_f32 v50, v35, 0x3f29c268, v39
	v_fmac_f32_e32 v39, 0xbf29c268, v35
	v_add_f32_e32 v35, v80, v40
	v_fmamk_f32 v40, v33, 0x3f6f5d39, v36
	v_fmac_f32_e32 v36, 0xbf6f5d39, v33
	v_add_f32_e32 v50, v50, v62
	v_add_f32_e32 v19, v39, v19
	v_fmamk_f32 v39, v33, 0xbf29c268, v79
	v_add_f32_e32 v37, v40, v37
	v_mul_f32_e32 v40, 0x3f62ad3f, v34
	v_fmac_f32_e32 v79, 0x3f29c268, v33
	v_add_f32_e32 v36, v36, v48
	v_add_f32_e32 v39, v39, v41
	v_mul_f32_e32 v48, 0x3df6dbef, v34
	v_fmamk_f32 v41, v33, 0xbeedf032, v40
	v_add_f32_e32 v62, v79, v94
	v_sub_f32_e32 v29, v31, v29
	v_mul_f32_e32 v31, 0xbf3f9e67, v30
	v_fmamk_f32 v79, v33, 0x3f7e222b, v48
	v_add_f32_e32 v41, v41, v58
	v_mul_f32_e32 v58, 0xbf788fa5, v34
	v_fmac_f32_e32 v48, 0xbf7e222b, v33
	v_mul_f32_e32 v34, 0x3f116cb1, v34
	v_add_f32_e32 v92, v99, v92
	v_fmac_f32_e32 v40, 0x3eedf032, v33
	v_fmamk_f32 v32, v33, 0xbe750f2a, v58
	v_add_f32_e32 v48, v48, v56
	v_fmac_f32_e32 v58, 0x3e750f2a, v33
	v_mul_f32_e32 v56, 0x3df6dbef, v30
	v_add_f32_e32 v54, v54, v92
	v_add_f32_e32 v32, v32, v38
	v_fmamk_f32 v38, v33, 0xbf52af12, v34
	v_fmac_f32_e32 v34, 0x3f52af12, v33
	v_fmamk_f32 v33, v29, 0x3f29c268, v31
	v_fmac_f32_e32 v31, 0xbf29c268, v29
	v_add_f32_e32 v40, v40, v54
	v_add_f32_e32 v38, v38, v50
	;; [unrolled: 1-line block ×4, first 2 shown]
	v_fmamk_f32 v34, v29, 0xbf7e222b, v56
	v_mul_f32_e32 v37, 0x3f116cb1, v30
	v_add_f32_e32 v31, v31, v36
	v_mul_f32_e32 v36, 0xbf788fa5, v30
	v_add_f32_e32 v22, v28, v22
	v_add_f32_e32 v34, v34, v39
	v_fmamk_f32 v39, v29, 0x3f52af12, v37
	v_fmac_f32_e32 v37, 0xbf52af12, v29
	v_fmamk_f32 v50, v29, 0xbe750f2a, v36
	v_fmac_f32_e32 v36, 0x3e750f2a, v29
	v_mul_f32_e32 v28, 0xbeb58ec6, v30
	v_add_f32_e32 v98, v101, v98
	v_add_f32_e32 v37, v37, v40
	v_mul_f32_e32 v40, 0x3f62ad3f, v30
	v_add_f32_e32 v35, v58, v35
	v_add_f32_e32 v36, v36, v48
	v_sub_f32_e32 v21, v23, v21
	v_mul_f32_e32 v23, 0xbf788fa5, v22
	v_fmamk_f32 v30, v29, 0xbeedf032, v40
	v_fmac_f32_e32 v40, 0x3eedf032, v29
	v_fmamk_f32 v48, v29, 0x3f6f5d39, v28
	v_add_f32_e32 v92, v95, v98
	v_fmac_f32_e32 v56, 0x3f7e222b, v29
	v_add_f32_e32 v30, v30, v32
	v_add_f32_e32 v32, v40, v35
	v_fmac_f32_e32 v28, 0xbf6f5d39, v29
	v_fmamk_f32 v29, v21, 0x3e750f2a, v23
	v_add_f32_e32 v35, v48, v38
	v_mul_f32_e32 v38, 0x3f62ad3f, v22
	v_add_f32_e32 v54, v79, v92
	v_add_f32_e32 v56, v56, v62
	v_fmac_f32_e32 v23, 0xbe750f2a, v21
	v_add_f32_e32 v19, v28, v19
	v_add_f32_e32 v28, v29, v33
	v_mul_f32_e32 v29, 0xbf3f9e67, v22
	v_fmamk_f32 v33, v21, 0xbeedf032, v38
	v_fmac_f32_e32 v38, 0x3eedf032, v21
	v_add_f32_e32 v39, v39, v41
	v_add_f32_e32 v41, v50, v54
	;; [unrolled: 1-line block ×3, first 2 shown]
	v_mul_f32_e32 v23, 0x3f116cb1, v22
	v_fmamk_f32 v31, v21, 0x3f29c268, v29
	v_add_f32_e32 v48, v38, v56
	v_mul_f32_e32 v38, 0xbeb58ec6, v22
	v_mul_f32_e32 v22, 0x3df6dbef, v22
	v_fmac_f32_e32 v29, 0xbf29c268, v21
	v_add_f32_e32 v31, v31, v39
	v_add_f32_e32 v33, v33, v34
	v_fmamk_f32 v34, v21, 0xbf52af12, v23
	v_fmamk_f32 v39, v21, 0xbf7e222b, v22
	v_fmac_f32_e32 v22, 0x3f7e222b, v21
	v_add_f32_e32 v29, v29, v37
	v_fmac_f32_e32 v23, 0x3f52af12, v21
	v_fmamk_f32 v37, v21, 0x3f6f5d39, v38
	v_fmac_f32_e32 v38, 0xbf6f5d39, v21
	v_add_f32_e32 v19, v22, v19
	v_add_f32_e32 v34, v34, v41
	;; [unrolled: 1-line block ×6, first 2 shown]
	s_waitcnt lgkmcnt(0)
	s_barrier
	buffer_gl0_inv
	ds_write2_b32 v93, v18, v91 offset1:26
	ds_write2_b32 v93, v76, v84 offset0:52 offset1:78
	ds_write2_b32 v93, v97, v89 offset0:104 offset1:130
	;; [unrolled: 1-line block ×5, first 2 shown]
	ds_write_b32 v93, v82 offset:1248
	ds_write2_b32 v106, v52, v28 offset1:26
	ds_write2_b32 v106, v33, v31 offset0:52 offset1:78
	ds_write2_b32 v106, v34, v23 offset0:104 offset1:130
	;; [unrolled: 1-line block ×5, first 2 shown]
	ds_write_b32 v106, v50 offset:1248
	v_add_nc_u32_e32 v19, v53, v74
	s_waitcnt lgkmcnt(0)
	s_barrier
	buffer_gl0_inv
	ds_read2_b32 v[20:21], v63 offset0:82 offset1:134
	ds_read2_b32 v[28:29], v51 offset0:164 offset1:216
	;; [unrolled: 1-line block ×3, first 2 shown]
	v_add_nc_u32_e32 v18, v49, v75
	ds_read2_b32 v[30:31], v63 offset0:186 offset1:238
	ds_read2_b32 v[34:35], v55 offset0:12 offset1:64
	;; [unrolled: 1-line block ×3, first 2 shown]
	ds_read_b32 v58, v47
	ds_read_b32 v52, v59
	;; [unrolled: 1-line block ×4, first 2 shown]
	ds_read2_b32 v[36:37], v51 offset0:34 offset1:86
	ds_read2_b32 v[40:41], v55 offset0:116 offset1:168
	;; [unrolled: 1-line block ×3, first 2 shown]
	ds_read_b32 v53, v18
	ds_read_b32 v55, v107
                                        ; implicit-def: $vgpr49
                                        ; implicit-def: $vgpr51
	s_and_saveexec_b32 s1, s0
	s_cbranch_execz .LBB0_17
; %bb.16:
	ds_read_b32 v50, v47 offset:2600
	ds_read_b32 v49, v47 offset:3952
	ds_read_b32 v48, v65
	ds_read_b32 v51, v47 offset:5304
	v_mov_b32_e32 v42, v73
.LBB0_17:
	s_or_b32 exec_lo, exec_lo, s1
	s_and_saveexec_b32 s0, vcc_lo
	s_cbranch_execz .LBB0_20
; %bb.18:
	v_mul_i32_i24_e32 v18, 3, v72
	v_mov_b32_e32 v19, 0
	v_mul_u32_u24_e32 v47, 3, v67
	v_add_nc_u32_e32 v63, 52, v67
	v_lshlrev_b64 v[24:25], 3, v[24:25]
	v_lshlrev_b64 v[59:60], 3, v[18:19]
	v_lshlrev_b32_e32 v18, 3, v47
	v_mul_hi_u32 v104, 0x60f25deb, v63
	v_add_co_u32 v61, s0, s8, v18
	v_add_co_u32 v47, vcc_lo, s8, v59
	v_add_co_ci_u32_e32 v57, vcc_lo, s9, v60, vcc_lo
	v_add_co_ci_u32_e64 v62, null, s9, 0, s0
	v_add_co_u32 v65, vcc_lo, 0xa80, v47
	v_mul_i32_i24_e32 v18, 3, v71
	v_add_co_ci_u32_e32 v66, vcc_lo, 0, v57, vcc_lo
	v_add_co_u32 v59, vcc_lo, 0x800, v61
	v_add_co_ci_u32_e32 v60, vcc_lo, 0, v62, vcc_lo
	v_add_co_u32 v71, vcc_lo, 0xa80, v61
	v_lshlrev_b64 v[79:80], 3, v[18:19]
	v_add_co_ci_u32_e32 v72, vcc_lo, 0, v62, vcc_lo
	v_add_co_u32 v73, vcc_lo, 0x800, v47
	v_add_co_ci_u32_e32 v74, vcc_lo, 0, v57, vcc_lo
	v_add_co_u32 v47, vcc_lo, s8, v79
	v_mul_i32_i24_e32 v18, 3, v70
	v_add_co_ci_u32_e32 v57, vcc_lo, s9, v80, vcc_lo
	v_add_co_u32 v79, vcc_lo, 0x800, v47
	v_lshlrev_b64 v[88:89], 3, v[18:19]
	v_add_co_ci_u32_e32 v80, vcc_lo, 0, v57, vcc_lo
	v_add_co_u32 v84, vcc_lo, 0xa80, v47
	v_add_co_ci_u32_e32 v85, vcc_lo, 0, v57, vcc_lo
	v_add_co_u32 v18, vcc_lo, s8, v88
	v_add_co_ci_u32_e32 v47, vcc_lo, s9, v89, vcc_lo
	s_clause 0x1
	global_load_dwordx4 v[59:62], v[59:60], off offset:640
	global_load_dwordx2 v[75:76], v[71:72], off offset:16
	v_add_co_u32 v88, vcc_lo, 0x800, v18
	v_add_co_ci_u32_e32 v89, vcc_lo, 0, v47, vcc_lo
	v_add_co_u32 v92, vcc_lo, 0xa80, v18
	v_mul_i32_i24_e32 v18, 3, v69
	v_add_co_ci_u32_e32 v93, vcc_lo, 0, v47, vcc_lo
	s_clause 0x3
	global_load_dwordx4 v[71:74], v[73:74], off offset:640
	global_load_dwordx2 v[65:66], v[65:66], off offset:16
	global_load_dwordx4 v[79:82], v[79:80], off offset:640
	global_load_dwordx2 v[84:85], v[84:85], off offset:16
	v_lshlrev_b64 v[69:70], 3, v[18:19]
	s_clause 0x1
	global_load_dwordx4 v[88:91], v[88:89], off offset:640
	global_load_dwordx2 v[100:101], v[92:93], off offset:16
	v_mul_hi_u32 v57, 0x60f25deb, v67
	v_add_co_u32 v18, vcc_lo, s8, v69
	v_add_co_ci_u32_e32 v47, vcc_lo, s9, v70, vcc_lo
	v_lshrrev_b32_e32 v57, 7, v57
	v_add_co_u32 v69, vcc_lo, 0x800, v18
	v_add_co_ci_u32_e32 v70, vcc_lo, 0, v47, vcc_lo
	v_add_co_u32 v96, vcc_lo, 0xa80, v18
	v_mul_i32_i24_e32 v18, 3, v68
	v_add_co_ci_u32_e32 v97, vcc_lo, 0, v47, vcc_lo
	s_clause 0x1
	global_load_dwordx4 v[92:95], v[69:70], off offset:640
	global_load_dwordx2 v[69:70], v[96:97], off offset:16
	v_lshlrev_b64 v[96:97], 3, v[18:19]
	v_add_nc_u32_e32 v68, 0x68, v67
	v_add_co_u32 v18, vcc_lo, s8, v96
	v_add_co_ci_u32_e32 v47, vcc_lo, s9, v97, vcc_lo
	v_mul_hi_u32 v105, 0x60f25deb, v68
	v_add_co_u32 v96, vcc_lo, 0x800, v18
	v_add_co_ci_u32_e32 v97, vcc_lo, 0, v47, vcc_lo
	v_add_co_u32 v102, vcc_lo, 0xa80, v18
	v_add_co_ci_u32_e32 v103, vcc_lo, 0, v47, vcc_lo
	s_clause 0x1
	global_load_dwordx4 v[96:99], v[96:97], off offset:640
	global_load_dwordx2 v[102:103], v[102:103], off offset:16
	v_mul_lo_u32 v18, s5, v26
	v_mul_lo_u32 v47, s4, v27
	v_mad_u64_u32 v[26:27], null, s4, v26, 0
	v_add3_u32 v27, v27, v47, v18
	v_mul_u32_u24_e32 v18, 0x152, v57
	v_lshrrev_b32_e32 v47, 7, v104
	v_lshrrev_b32_e32 v57, 7, v105
	v_lshlrev_b64 v[26:27], 3, v[26:27]
	v_sub_nc_u32_e32 v114, v67, v18
	v_mul_u32_u24_e32 v18, 0x152, v47
	v_mul_u32_u24_e32 v104, 0x152, v57
	v_add_co_u32 v105, vcc_lo, s14, v26
	v_add_co_ci_u32_e32 v106, vcc_lo, s15, v27, vcc_lo
	v_mad_u64_u32 v[26:27], null, s2, v114, 0
	v_add_nc_u32_e32 v123, 0x152, v114
	v_sub_nc_u32_e32 v18, v63, v18
	v_add_nc_u32_e32 v125, 0x2a4, v114
	v_add_nc_u32_e32 v126, 0x3f6, v114
	v_sub_nc_u32_e32 v63, v68, v104
	v_add_co_u32 v24, vcc_lo, v105, v24
	v_mad_u64_u32 v[104:105], null, s2, v123, 0
	v_mad_u32_u24 v68, 0x548, v47, v18
	v_add_co_ci_u32_e32 v25, vcc_lo, v106, v25, vcc_lo
	v_mad_u64_u32 v[106:107], null, s2, v125, 0
	v_mad_u64_u32 v[108:109], null, s2, v126, 0
	v_mov_b32_e32 v18, v27
	v_mad_u64_u32 v[110:111], null, s2, v68, 0
	v_add_nc_u32_e32 v128, 0x152, v68
	v_add_nc_u32_e32 v129, 0x2a4, v68
	v_mad_u64_u32 v[114:115], null, s3, v114, v[18:19]
	v_mov_b32_e32 v18, v105
	v_mov_b32_e32 v27, v107
	v_mad_u64_u32 v[115:116], null, s2, v128, 0
	v_mov_b32_e32 v47, v109
	v_mad_u64_u32 v[117:118], null, s2, v129, 0
	v_mad_u64_u32 v[123:124], null, s3, v123, v[18:19]
	v_mov_b32_e32 v18, v111
	s_waitcnt lgkmcnt(13)
	v_mad_u64_u32 v[124:125], null, s3, v125, v[27:28]
	s_waitcnt lgkmcnt(1)
	v_mad_u64_u32 v[125:126], null, s3, v126, v[47:48]
	v_mad_u64_u32 v[126:127], null, s3, v68, v[18:19]
	v_mov_b32_e32 v18, v116
	v_add_nc_u32_e32 v130, 0x3f6, v68
	v_mov_b32_e32 v47, v118
	v_mov_b32_e32 v105, v123
	;; [unrolled: 1-line block ×3, first 2 shown]
	v_mad_u64_u32 v[123:124], null, s3, v128, v[18:19]
	v_mad_u64_u32 v[119:120], null, s2, v130, 0
	v_mov_b32_e32 v109, v125
	v_mad_u64_u32 v[124:125], null, s3, v129, v[47:48]
	v_mad_u32_u24 v63, 0x548, v57, v63
	v_mov_b32_e32 v116, v123
	v_mov_b32_e32 v27, v114
	v_mov_b32_e32 v57, v120
	v_lshlrev_b64 v[104:105], 3, v[104:105]
	v_lshlrev_b64 v[106:107], 3, v[106:107]
	v_mov_b32_e32 v118, v124
	v_lshlrev_b64 v[114:115], 3, v[115:116]
	v_mad_u64_u32 v[127:128], null, s3, v130, v[57:58]
	v_lshlrev_b64 v[26:27], 3, v[26:27]
	v_lshlrev_b64 v[116:117], 3, v[117:118]
	;; [unrolled: 1-line block ×3, first 2 shown]
	v_add_nc_u32_e32 v131, 0x152, v63
	v_mov_b32_e32 v111, v126
	v_mad_u64_u32 v[112:113], null, s2, v63, 0
	v_add_co_u32 v26, vcc_lo, v24, v26
	v_add_co_ci_u32_e32 v27, vcc_lo, v25, v27, vcc_lo
	v_add_co_u32 v104, vcc_lo, v24, v104
	v_add_co_ci_u32_e32 v105, vcc_lo, v25, v105, vcc_lo
	;; [unrolled: 2-line block ×4, first 2 shown]
	v_mad_u64_u32 v[121:122], null, s2, v131, 0
	v_lshlrev_b64 v[110:111], 3, v[110:111]
	v_add_co_u32 v110, vcc_lo, v24, v110
	v_add_co_ci_u32_e32 v111, vcc_lo, v25, v111, vcc_lo
	s_waitcnt vmcnt(11)
	v_mul_f32_e32 v18, v0, v62
	v_mul_f32_e32 v47, v2, v59
	s_waitcnt vmcnt(10)
	v_mul_f32_e32 v57, v4, v75
	v_mul_f32_e32 v62, v28, v62
	;; [unrolled: 1-line block ×4, first 2 shown]
	v_fma_f32 v18, v28, v61, -v18
	v_fmac_f32_e32 v47, v20, v60
	v_fmac_f32_e32 v57, v22, v76
	;; [unrolled: 1-line block ×3, first 2 shown]
	s_waitcnt vmcnt(9)
	v_mul_f32_e32 v68, v13, v74
	v_mul_f32_e32 v118, v37, v72
	s_waitcnt vmcnt(8)
	v_mul_f32_e32 v120, v39, v66
	v_mul_f32_e32 v74, v41, v74
	v_mul_f32_e32 v72, v15, v72
	v_mul_f32_e32 v66, v17, v66
	v_fma_f32 v0, v20, v59, -v2
	v_fma_f32 v2, v22, v75, -v4
	;; [unrolled: 1-line block ×3, first 2 shown]
	v_fmac_f32_e32 v118, v15, v71
	v_fmac_f32_e32 v120, v17, v65
	;; [unrolled: 1-line block ×3, first 2 shown]
	v_fma_f32 v17, v37, v71, -v72
	v_fma_f32 v13, v39, v65, -v66
	s_waitcnt vmcnt(7)
	v_mul_f32_e32 v15, v12, v82
	v_mul_f32_e32 v20, v36, v80
	s_waitcnt vmcnt(6)
	v_mul_f32_e32 v22, v38, v85
	v_mul_f32_e32 v28, v40, v82
	;; [unrolled: 1-line block ×4, first 2 shown]
	v_sub_f32_e32 v18, v58, v18
	v_sub_f32_e32 v41, v47, v57
	;; [unrolled: 1-line block ×4, first 2 shown]
	s_waitcnt lgkmcnt(0)
	v_sub_f32_e32 v4, v55, v4
	v_sub_f32_e32 v59, v118, v120
	;; [unrolled: 1-line block ×4, first 2 shown]
	v_fma_f32 v40, v40, v81, -v15
	v_fmac_f32_e32 v20, v14, v79
	v_fmac_f32_e32 v22, v16, v84
	;; [unrolled: 1-line block ×3, first 2 shown]
	v_fma_f32 v62, v36, v79, -v37
	v_fma_f32 v16, v38, v84, -v39
	s_waitcnt vmcnt(5)
	v_mul_f32_e32 v36, v7, v91
	v_mul_f32_e32 v65, v9, v88
	s_waitcnt vmcnt(4)
	v_mul_f32_e32 v39, v33, v101
	v_mul_f32_e32 v66, v35, v91
	;; [unrolled: 1-line block ×4, first 2 shown]
	v_sub_f32_e32 v13, v18, v41
	v_add_f32_e32 v12, v57, v2
	v_fma_f32 v58, v58, 2.0, -v18
	v_fma_f32 v0, v0, 2.0, -v2
	;; [unrolled: 1-line block ×4, first 2 shown]
	v_sub_f32_e32 v15, v4, v59
	v_add_f32_e32 v14, v60, v61
	v_fma_f32 v41, v55, 2.0, -v4
	v_fma_f32 v47, v17, 2.0, -v61
	;; [unrolled: 1-line block ×4, first 2 shown]
	v_sub_f32_e32 v40, v56, v40
	v_sub_f32_e32 v22, v20, v22
	;; [unrolled: 1-line block ×4, first 2 shown]
	v_fma_f32 v68, v35, v90, -v36
	v_fmac_f32_e32 v65, v31, v89
	v_fmac_f32_e32 v39, v11, v100
	;; [unrolled: 1-line block ×3, first 2 shown]
	v_fma_f32 v11, v31, v88, -v9
	v_fma_f32 v31, v33, v100, -v37
	s_waitcnt vmcnt(3)
	v_mul_f32_e32 v33, v6, v95
	v_mul_f32_e32 v71, v8, v92
	s_waitcnt vmcnt(2)
	v_mul_f32_e32 v72, v10, v69
	v_mul_f32_e32 v73, v34, v95
	;; [unrolled: 1-line block ×4, first 2 shown]
	v_fma_f32 v8, v18, 2.0, -v13
	v_fma_f32 v7, v57, 2.0, -v12
	v_sub_f32_e32 v10, v58, v0
	v_sub_f32_e32 v9, v2, v38
	;; [unrolled: 1-line block ×5, first 2 shown]
	v_add_f32_e32 v37, v28, v61
	v_fma_f32 v0, v56, 2.0, -v40
	v_fma_f32 v18, v62, 2.0, -v61
	;; [unrolled: 1-line block ×4, first 2 shown]
	v_sub_f32_e32 v22, v54, v68
	v_sub_f32_e32 v56, v65, v39
	;; [unrolled: 1-line block ×4, first 2 shown]
	v_fma_f32 v34, v34, v94, -v33
	v_fmac_f32_e32 v71, v30, v93
	v_fmac_f32_e32 v72, v32, v70
	;; [unrolled: 1-line block ×3, first 2 shown]
	v_fma_f32 v6, v32, v69, -v75
	s_waitcnt vmcnt(1)
	v_mul_f32_e32 v61, v1, v99
	v_mul_f32_e32 v62, v3, v96
	;; [unrolled: 1-line block ×3, first 2 shown]
	s_waitcnt vmcnt(0)
	v_mul_f32_e32 v70, v5, v103
	v_fma_f32 v16, v60, 2.0, -v14
	v_fma_f32 v60, v30, v92, -v74
	v_mul_f32_e32 v66, v5, v102
	v_mul_f32_e32 v68, v29, v99
	v_fma_f32 v3, v58, 2.0, -v10
	v_fma_f32 v2, v2, 2.0, -v9
	;; [unrolled: 1-line block ×5, first 2 shown]
	v_sub_f32_e32 v33, v0, v18
	v_sub_f32_e32 v32, v47, v20
	;; [unrolled: 1-line block ×3, first 2 shown]
	v_fma_f32 v18, v54, 2.0, -v22
	v_fma_f32 v11, v11, 2.0, -v59
	;; [unrolled: 1-line block ×4, first 2 shown]
	v_sub_f32_e32 v34, v53, v34
	v_sub_f32_e32 v41, v71, v72
	v_fma_f32 v29, v29, v98, -v61
	v_fmac_f32_e32 v62, v21, v97
	v_fma_f32 v56, v21, v96, -v69
	v_fma_f32 v21, v23, v102, -v70
	v_fma_f32 v17, v4, 2.0, -v15
	v_fma_f32 v4, v55, 2.0, -v35
	v_sub_f32_e32 v54, v77, v73
	v_sub_f32_e32 v55, v60, v6
	v_fmac_f32_e32 v66, v23, v103
	v_fmac_f32_e32 v68, v1, v98
	global_store_dwordx2 v[26:27], v[2:3], off
	global_store_dwordx2 v[104:105], v[7:8], off
	;; [unrolled: 1-line block ×4, first 2 shown]
	v_sub_f32_e32 v7, v18, v11
	v_sub_f32_e32 v6, v20, v28
	;; [unrolled: 1-line block ×3, first 2 shown]
	v_fma_f32 v23, v71, 2.0, -v41
	v_sub_f32_e32 v41, v52, v29
	v_sub_f32_e32 v28, v56, v21
	v_fma_f32 v3, v22, 2.0, -v40
	v_add_f32_e32 v8, v54, v55
	v_fma_f32 v22, v60, 2.0, -v55
	v_sub_f32_e32 v27, v62, v66
	v_sub_f32_e32 v55, v64, v68
	v_fma_f32 v26, v53, 2.0, -v34
	v_fma_f32 v11, v18, 2.0, -v7
	;; [unrolled: 1-line block ×7, first 2 shown]
	v_sub_f32_e32 v21, v26, v22
	v_add_f32_e32 v22, v55, v28
	v_sub_f32_e32 v29, v18, v29
	v_fma_f32 v1, v0, 2.0, -v33
	v_fma_f32 v0, v47, 2.0, -v32
	;; [unrolled: 1-line block ×3, first 2 shown]
	v_sub_f32_e32 v28, v34, v52
	v_add_f32_e32 v39, v57, v59
	v_fma_f32 v52, v55, 2.0, -v22
	v_fma_f32 v55, v18, 2.0, -v29
	v_mov_b32_e32 v18, v113
	v_fma_f32 v10, v20, 2.0, -v6
	v_fma_f32 v12, v54, 2.0, -v8
	v_sub_f32_e32 v20, v47, v23
	v_sub_f32_e32 v23, v41, v27
	v_fma_f32 v54, v34, 2.0, -v28
	v_mov_b32_e32 v34, v122
	v_add_co_u32 v56, vcc_lo, v24, v114
	v_fma_f32 v2, v57, 2.0, -v39
	v_add_co_ci_u32_e32 v57, vcc_lo, v25, v115, vcc_lo
	v_mad_u64_u32 v[60:61], null, s3, v63, v[18:19]
	v_fma_f32 v53, v41, 2.0, -v23
	v_add_co_u32 v58, vcc_lo, v24, v116
	v_mad_u64_u32 v[61:62], null, s3, v131, v[34:35]
	v_add_nc_u32_e32 v34, 0x2a4, v63
	v_add_nc_u32_e32 v41, 0x9c, v67
	v_add_co_ci_u32_e32 v59, vcc_lo, v25, v117, vcc_lo
	v_fma_f32 v27, v26, 2.0, -v21
	v_fma_f32 v26, v47, 2.0, -v20
	global_store_dwordx2 v[110:111], v[54:55], off
	global_store_dwordx2 v[56:57], v[52:53], off
	;; [unrolled: 1-line block ×3, first 2 shown]
	v_mad_u64_u32 v[52:53], null, s2, v34, 0
	v_mul_hi_u32 v47, 0x60f25deb, v41
	v_mov_b32_e32 v120, v127
	v_mov_b32_e32 v113, v60
	;; [unrolled: 1-line block ×3, first 2 shown]
	v_add_nc_u32_e32 v62, 0x3f6, v63
	v_mov_b32_e32 v18, v53
	v_lshlrev_b64 v[28:29], 3, v[119:120]
	v_lshrrev_b32_e32 v47, 7, v47
	v_lshlrev_b64 v[54:55], 3, v[112:113]
	v_lshlrev_b64 v[56:57], 3, v[121:122]
	v_mad_u64_u32 v[60:61], null, s3, v34, v[18:19]
	v_mul_u32_u24_e32 v34, 0x152, v47
	v_add_co_u32 v28, vcc_lo, v24, v28
	v_mad_u64_u32 v[58:59], null, s2, v62, 0
	v_sub_nc_u32_e32 v34, v41, v34
	v_add_co_ci_u32_e32 v29, vcc_lo, v25, v29, vcc_lo
	v_add_co_u32 v54, vcc_lo, v24, v54
	v_add_co_ci_u32_e32 v55, vcc_lo, v25, v55, vcc_lo
	v_add_co_u32 v56, vcc_lo, v24, v56
	v_mad_u32_u24 v34, 0x548, v47, v34
	v_mov_b32_e32 v18, v59
	v_add_co_ci_u32_e32 v57, vcc_lo, v25, v57, vcc_lo
	global_store_dwordx2 v[28:29], v[22:23], off
	global_store_dwordx2 v[54:55], v[26:27], off
	;; [unrolled: 1-line block ×3, first 2 shown]
	v_add_nc_u32_e32 v41, 0x152, v34
	v_mad_u64_u32 v[22:23], null, s2, v34, 0
	v_mov_b32_e32 v53, v60
	v_mad_u64_u32 v[59:60], null, s3, v62, v[18:19]
	v_mad_u64_u32 v[26:27], null, s2, v41, 0
	v_add_nc_u32_e32 v57, 0xd0, v67
	v_lshlrev_b64 v[12:13], 3, v[52:53]
	v_mov_b32_e32 v18, v23
	v_add_nc_u32_e32 v47, 0x2a4, v34
	v_lshlrev_b64 v[28:29], 3, v[58:59]
	v_mul_hi_u32 v58, 0x60f25deb, v57
	v_add_co_u32 v12, vcc_lo, v24, v12
	v_mad_u64_u32 v[52:53], null, s3, v34, v[18:19]
	v_mov_b32_e32 v18, v27
	v_mad_u64_u32 v[53:54], null, s2, v47, 0
	v_add_co_ci_u32_e32 v13, vcc_lo, v25, v13, vcc_lo
	v_add_co_u32 v27, vcc_lo, v24, v28
	v_add_co_ci_u32_e32 v28, vcc_lo, v25, v29, vcc_lo
	v_mad_u64_u32 v[55:56], null, s3, v41, v[18:19]
	v_lshrrev_b32_e32 v18, 7, v58
	global_store_dwordx2 v[12:13], v[20:21], off
	global_store_dwordx2 v[27:28], v[8:9], off
	v_mov_b32_e32 v8, v54
	v_mov_b32_e32 v23, v52
	v_add_nc_u32_e32 v28, 0x3f6, v34
	v_mul_u32_u24_e32 v20, 0x152, v18
	v_mov_b32_e32 v27, v55
	v_mad_u64_u32 v[8:9], null, s3, v47, v[8:9]
	v_lshlrev_b64 v[12:13], 3, v[22:23]
	v_sub_nc_u32_e32 v9, v57, v20
	v_mad_u64_u32 v[22:23], null, s2, v28, 0
	v_lshlrev_b64 v[20:21], 3, v[26:27]
	v_mad_u32_u24 v34, 0x548, v18, v9
	v_add_co_u32 v12, vcc_lo, v24, v12
	v_mov_b32_e32 v54, v8
	v_mov_b32_e32 v18, v23
	v_mad_u64_u32 v[26:27], null, s2, v34, 0
	v_add_nc_u32_e32 v41, 0x152, v34
	v_add_co_ci_u32_e32 v13, vcc_lo, v25, v13, vcc_lo
	v_add_co_u32 v8, vcc_lo, v24, v20
	v_add_co_ci_u32_e32 v9, vcc_lo, v25, v21, vcc_lo
	v_lshlrev_b64 v[20:21], 3, v[53:54]
	v_mov_b32_e32 v23, v27
	v_mad_u64_u32 v[27:28], null, s3, v28, v[18:19]
	v_mad_u64_u32 v[52:53], null, s2, v41, 0
	v_add_co_u32 v20, vcc_lo, v24, v20
	v_mad_u64_u32 v[28:29], null, s3, v34, v[23:24]
	v_add_co_ci_u32_e32 v21, vcc_lo, v25, v21, vcc_lo
	v_mov_b32_e32 v23, v27
	global_store_dwordx2 v[12:13], v[10:11], off
	global_store_dwordx2 v[8:9], v[2:3], off
	v_mov_b32_e32 v2, v53
	v_add_nc_u32_e32 v18, 0x104, v67
	global_store_dwordx2 v[20:21], v[6:7], off
	v_lshlrev_b64 v[6:7], 3, v[22:23]
	v_add_nc_u32_e32 v12, 0x2a4, v34
	v_mad_u64_u32 v[2:3], null, s3, v41, v[2:3]
	v_mov_b32_e32 v27, v28
	v_mul_hi_u32 v13, 0x60f25deb, v18
	v_add_co_u32 v6, vcc_lo, v24, v6
	v_mad_u64_u32 v[10:11], null, s2, v12, 0
	v_lshlrev_b64 v[8:9], 3, v[26:27]
	v_add_co_ci_u32_e32 v7, vcc_lo, v25, v7, vcc_lo
	v_mov_b32_e32 v53, v2
	v_lshrrev_b32_e32 v20, 7, v13
	global_store_dwordx2 v[6:7], v[39:40], off
	v_add_co_u32 v2, vcc_lo, v24, v8
	v_lshlrev_b64 v[7:8], 3, v[52:53]
	v_mov_b32_e32 v6, v11
	v_add_co_ci_u32_e32 v3, vcc_lo, v25, v9, vcc_lo
	v_add_nc_u32_e32 v9, 0x3f6, v34
	v_mul_u32_u24_e32 v21, 0x152, v20
	v_mad_u64_u32 v[11:12], null, s3, v12, v[6:7]
	v_add_co_u32 v6, vcc_lo, v24, v7
	v_mad_u64_u32 v[12:13], null, s2, v9, 0
	v_add_co_ci_u32_e32 v7, vcc_lo, v25, v8, vcc_lo
	v_sub_nc_u32_e32 v8, v18, v21
	global_store_dwordx2 v[2:3], v[0:1], off
	v_lshlrev_b64 v[1:2], 3, v[10:11]
	global_store_dwordx2 v[6:7], v[30:31], off
	v_mov_b32_e32 v0, v13
	v_mad_u32_u24 v18, 0x548, v20, v8
	v_mad_u64_u32 v[6:7], null, s3, v9, v[0:1]
	v_add_nc_u32_e32 v22, 0x152, v18
	v_add_co_u32 v0, vcc_lo, v24, v1
	v_mad_u64_u32 v[7:8], null, s2, v18, 0
	v_add_co_ci_u32_e32 v1, vcc_lo, v25, v2, vcc_lo
	v_mad_u64_u32 v[2:3], null, s2, v22, 0
	v_add_nc_u32_e32 v23, 0x2a4, v18
	global_store_dwordx2 v[0:1], v[32:33], off
	v_mov_b32_e32 v0, v8
	v_mov_b32_e32 v13, v6
	v_mad_u64_u32 v[9:10], null, s2, v23, 0
	v_mov_b32_e32 v1, v3
	v_lshlrev_b64 v[11:12], 3, v[12:13]
	v_mad_u64_u32 v[20:21], null, s3, v18, v[0:1]
	v_add_nc_u32_e32 v18, 0x3f6, v18
	v_mad_u64_u32 v[0:1], null, s3, v22, v[1:2]
	v_mov_b32_e32 v1, v10
	v_add_co_u32 v10, vcc_lo, v24, v11
	v_mad_u64_u32 v[21:22], null, s2, v18, 0
	v_add_co_ci_u32_e32 v11, vcc_lo, v25, v12, vcc_lo
	v_mad_u64_u32 v[12:13], null, s3, v23, v[1:2]
	v_mov_b32_e32 v8, v20
	v_mov_b32_e32 v3, v0
	;; [unrolled: 1-line block ×3, first 2 shown]
	global_store_dwordx2 v[10:11], v[37:38], off
	v_lshlrev_b64 v[6:7], 3, v[7:8]
	v_mov_b32_e32 v10, v12
	v_mad_u64_u32 v[0:1], null, s3, v18, v[1:2]
	v_lshlrev_b64 v[1:2], 3, v[2:3]
	v_add_co_u32 v6, vcc_lo, v24, v6
	v_lshlrev_b64 v[8:9], 3, v[9:10]
	v_add_co_ci_u32_e32 v7, vcc_lo, v25, v7, vcc_lo
	v_mov_b32_e32 v22, v0
	v_add_co_u32 v1, vcc_lo, v24, v1
	v_add_co_ci_u32_e32 v2, vcc_lo, v25, v2, vcc_lo
	v_lshlrev_b64 v[10:11], 3, v[21:22]
	v_add_co_u32 v8, vcc_lo, v24, v8
	v_add_nc_u32_e32 v0, 0x138, v67
	v_add_co_ci_u32_e32 v9, vcc_lo, v25, v9, vcc_lo
	v_add_co_u32 v10, vcc_lo, v24, v10
	v_add_co_ci_u32_e32 v11, vcc_lo, v25, v11, vcc_lo
	v_cmp_gt_u32_e32 vcc_lo, 0x152, v0
	global_store_dwordx2 v[6:7], v[4:5], off
	global_store_dwordx2 v[1:2], v[16:17], off
	;; [unrolled: 1-line block ×4, first 2 shown]
	s_and_b32 exec_lo, exec_lo, vcc_lo
	s_cbranch_execz .LBB0_20
; %bb.19:
	v_mul_i32_i24_e32 v18, 3, v42
	v_add_nc_u32_e32 v17, 0x28a, v67
	v_mad_u64_u32 v[7:8], null, s2, v0, 0
	v_lshlrev_b64 v[1:2], 3, v[18:19]
	v_add_nc_u32_e32 v18, 0x3dc, v67
	v_add_nc_u32_e32 v19, 0x52e, v67
	v_mad_u64_u32 v[9:10], null, s2, v17, 0
	v_mad_u64_u32 v[11:12], null, s2, v18, 0
	v_add_co_u32 v3, vcc_lo, s8, v1
	v_add_co_ci_u32_e32 v4, vcc_lo, s9, v2, vcc_lo
	v_mad_u64_u32 v[13:14], null, s2, v19, 0
	v_add_co_u32 v1, vcc_lo, 0x800, v3
	v_add_co_ci_u32_e32 v2, vcc_lo, 0, v4, vcc_lo
	v_add_co_u32 v5, vcc_lo, 0xa80, v3
	v_add_co_ci_u32_e32 v6, vcc_lo, 0, v4, vcc_lo
	s_clause 0x1
	global_load_dwordx4 v[1:4], v[1:2], off offset:640
	global_load_dwordx2 v[5:6], v[5:6], off offset:16
	v_mad_u64_u32 v[15:16], null, s3, v0, v[8:9]
	v_mov_b32_e32 v0, v12
	v_mov_b32_e32 v8, v14
	v_mad_u64_u32 v[16:17], null, s3, v17, v[10:11]
	v_mov_b32_e32 v10, v16
	s_waitcnt vmcnt(1)
	v_mad_u64_u32 v[17:18], null, s3, v18, v[0:1]
	v_mad_u64_u32 v[18:19], null, s3, v19, v[8:9]
	v_mov_b32_e32 v8, v15
	v_mul_f32_e32 v15, v50, v2
	v_mul_f32_e32 v0, v44, v2
	;; [unrolled: 1-line block ×4, first 2 shown]
	s_waitcnt vmcnt(0)
	v_mul_f32_e32 v16, v51, v6
	v_mul_f32_e32 v6, v46, v6
	v_mov_b32_e32 v12, v17
	v_mov_b32_e32 v14, v18
	v_fmac_f32_e32 v15, v44, v1
	v_fma_f32 v17, v50, v1, -v0
	v_fmac_f32_e32 v2, v45, v3
	v_fma_f32 v3, v49, v3, -v4
	v_fmac_f32_e32 v16, v46, v5
	v_fma_f32 v4, v51, v5, -v6
	v_lshlrev_b64 v[7:8], 3, v[7:8]
	v_lshlrev_b64 v[0:1], 3, v[13:14]
	v_sub_f32_e32 v13, v43, v2
	v_sub_f32_e32 v14, v48, v3
	;; [unrolled: 1-line block ×4, first 2 shown]
	v_add_co_u32 v2, vcc_lo, v24, v7
	v_lshlrev_b64 v[9:10], 3, v[9:10]
	v_add_co_ci_u32_e32 v3, vcc_lo, v25, v8, vcc_lo
	v_fma_f32 v18, v43, 2.0, -v13
	v_fma_f32 v19, v48, 2.0, -v14
	v_fma_f32 v8, v15, 2.0, -v16
	v_fma_f32 v15, v17, 2.0, -v6
	v_lshlrev_b64 v[11:12], 3, v[11:12]
	v_add_co_u32 v4, vcc_lo, v24, v9
	v_add_f32_e32 v6, v13, v6
	v_sub_f32_e32 v7, v14, v16
	v_sub_f32_e32 v8, v18, v8
	;; [unrolled: 1-line block ×3, first 2 shown]
	v_add_co_ci_u32_e32 v5, vcc_lo, v25, v10, vcc_lo
	v_add_co_u32 v10, vcc_lo, v24, v11
	v_add_co_ci_u32_e32 v11, vcc_lo, v25, v12, vcc_lo
	v_fma_f32 v12, v13, 2.0, -v6
	v_fma_f32 v13, v14, 2.0, -v7
	;; [unrolled: 1-line block ×4, first 2 shown]
	v_add_co_u32 v0, vcc_lo, v24, v0
	v_add_co_ci_u32_e32 v1, vcc_lo, v25, v1, vcc_lo
	global_store_dwordx2 v[2:3], v[14:15], off
	global_store_dwordx2 v[4:5], v[12:13], off
	;; [unrolled: 1-line block ×4, first 2 shown]
.LBB0_20:
	s_endpgm
	.section	.rodata,"a",@progbits
	.p2align	6, 0x0
	.amdhsa_kernel fft_rtc_back_len1352_factors_2_13_13_4_wgs_52_tpt_52_halfLds_sp_op_CI_CI_sbrr_dirReg
		.amdhsa_group_segment_fixed_size 0
		.amdhsa_private_segment_fixed_size 0
		.amdhsa_kernarg_size 104
		.amdhsa_user_sgpr_count 6
		.amdhsa_user_sgpr_private_segment_buffer 1
		.amdhsa_user_sgpr_dispatch_ptr 0
		.amdhsa_user_sgpr_queue_ptr 0
		.amdhsa_user_sgpr_kernarg_segment_ptr 1
		.amdhsa_user_sgpr_dispatch_id 0
		.amdhsa_user_sgpr_flat_scratch_init 0
		.amdhsa_user_sgpr_private_segment_size 0
		.amdhsa_wavefront_size32 1
		.amdhsa_uses_dynamic_stack 0
		.amdhsa_system_sgpr_private_segment_wavefront_offset 0
		.amdhsa_system_sgpr_workgroup_id_x 1
		.amdhsa_system_sgpr_workgroup_id_y 0
		.amdhsa_system_sgpr_workgroup_id_z 0
		.amdhsa_system_sgpr_workgroup_info 0
		.amdhsa_system_vgpr_workitem_id 0
		.amdhsa_next_free_vgpr 150
		.amdhsa_next_free_sgpr 31
		.amdhsa_reserve_vcc 1
		.amdhsa_reserve_flat_scratch 0
		.amdhsa_float_round_mode_32 0
		.amdhsa_float_round_mode_16_64 0
		.amdhsa_float_denorm_mode_32 3
		.amdhsa_float_denorm_mode_16_64 3
		.amdhsa_dx10_clamp 1
		.amdhsa_ieee_mode 1
		.amdhsa_fp16_overflow 0
		.amdhsa_workgroup_processor_mode 1
		.amdhsa_memory_ordered 1
		.amdhsa_forward_progress 0
		.amdhsa_shared_vgpr_count 0
		.amdhsa_exception_fp_ieee_invalid_op 0
		.amdhsa_exception_fp_denorm_src 0
		.amdhsa_exception_fp_ieee_div_zero 0
		.amdhsa_exception_fp_ieee_overflow 0
		.amdhsa_exception_fp_ieee_underflow 0
		.amdhsa_exception_fp_ieee_inexact 0
		.amdhsa_exception_int_div_zero 0
	.end_amdhsa_kernel
	.text
.Lfunc_end0:
	.size	fft_rtc_back_len1352_factors_2_13_13_4_wgs_52_tpt_52_halfLds_sp_op_CI_CI_sbrr_dirReg, .Lfunc_end0-fft_rtc_back_len1352_factors_2_13_13_4_wgs_52_tpt_52_halfLds_sp_op_CI_CI_sbrr_dirReg
                                        ; -- End function
	.section	.AMDGPU.csdata,"",@progbits
; Kernel info:
; codeLenInByte = 21128
; NumSgprs: 33
; NumVgprs: 150
; ScratchSize: 0
; MemoryBound: 0
; FloatMode: 240
; IeeeMode: 1
; LDSByteSize: 0 bytes/workgroup (compile time only)
; SGPRBlocks: 4
; VGPRBlocks: 18
; NumSGPRsForWavesPerEU: 33
; NumVGPRsForWavesPerEU: 150
; Occupancy: 6
; WaveLimiterHint : 1
; COMPUTE_PGM_RSRC2:SCRATCH_EN: 0
; COMPUTE_PGM_RSRC2:USER_SGPR: 6
; COMPUTE_PGM_RSRC2:TRAP_HANDLER: 0
; COMPUTE_PGM_RSRC2:TGID_X_EN: 1
; COMPUTE_PGM_RSRC2:TGID_Y_EN: 0
; COMPUTE_PGM_RSRC2:TGID_Z_EN: 0
; COMPUTE_PGM_RSRC2:TIDIG_COMP_CNT: 0
	.text
	.p2alignl 6, 3214868480
	.fill 48, 4, 3214868480
	.type	__hip_cuid_c3ae19db16c33f1a,@object ; @__hip_cuid_c3ae19db16c33f1a
	.section	.bss,"aw",@nobits
	.globl	__hip_cuid_c3ae19db16c33f1a
__hip_cuid_c3ae19db16c33f1a:
	.byte	0                               ; 0x0
	.size	__hip_cuid_c3ae19db16c33f1a, 1

	.ident	"AMD clang version 19.0.0git (https://github.com/RadeonOpenCompute/llvm-project roc-6.4.0 25133 c7fe45cf4b819c5991fe208aaa96edf142730f1d)"
	.section	".note.GNU-stack","",@progbits
	.addrsig
	.addrsig_sym __hip_cuid_c3ae19db16c33f1a
	.amdgpu_metadata
---
amdhsa.kernels:
  - .args:
      - .actual_access:  read_only
        .address_space:  global
        .offset:         0
        .size:           8
        .value_kind:     global_buffer
      - .offset:         8
        .size:           8
        .value_kind:     by_value
      - .actual_access:  read_only
        .address_space:  global
        .offset:         16
        .size:           8
        .value_kind:     global_buffer
      - .actual_access:  read_only
        .address_space:  global
        .offset:         24
        .size:           8
        .value_kind:     global_buffer
      - .actual_access:  read_only
        .address_space:  global
        .offset:         32
        .size:           8
        .value_kind:     global_buffer
      - .offset:         40
        .size:           8
        .value_kind:     by_value
      - .actual_access:  read_only
        .address_space:  global
        .offset:         48
        .size:           8
        .value_kind:     global_buffer
      - .actual_access:  read_only
        .address_space:  global
        .offset:         56
        .size:           8
        .value_kind:     global_buffer
      - .offset:         64
        .size:           4
        .value_kind:     by_value
      - .actual_access:  read_only
        .address_space:  global
        .offset:         72
        .size:           8
        .value_kind:     global_buffer
      - .actual_access:  read_only
        .address_space:  global
        .offset:         80
        .size:           8
        .value_kind:     global_buffer
      - .actual_access:  read_only
        .address_space:  global
        .offset:         88
        .size:           8
        .value_kind:     global_buffer
      - .actual_access:  write_only
        .address_space:  global
        .offset:         96
        .size:           8
        .value_kind:     global_buffer
    .group_segment_fixed_size: 0
    .kernarg_segment_align: 8
    .kernarg_segment_size: 104
    .language:       OpenCL C
    .language_version:
      - 2
      - 0
    .max_flat_workgroup_size: 52
    .name:           fft_rtc_back_len1352_factors_2_13_13_4_wgs_52_tpt_52_halfLds_sp_op_CI_CI_sbrr_dirReg
    .private_segment_fixed_size: 0
    .sgpr_count:     33
    .sgpr_spill_count: 0
    .symbol:         fft_rtc_back_len1352_factors_2_13_13_4_wgs_52_tpt_52_halfLds_sp_op_CI_CI_sbrr_dirReg.kd
    .uniform_work_group_size: 1
    .uses_dynamic_stack: false
    .vgpr_count:     150
    .vgpr_spill_count: 0
    .wavefront_size: 32
    .workgroup_processor_mode: 1
amdhsa.target:   amdgcn-amd-amdhsa--gfx1030
amdhsa.version:
  - 1
  - 2
...

	.end_amdgpu_metadata
